;; amdgpu-corpus repo=ROCm/rocFFT kind=compiled arch=gfx950 opt=O3
	.text
	.amdgcn_target "amdgcn-amd-amdhsa--gfx950"
	.amdhsa_code_object_version 6
	.protected	bluestein_single_back_len3456_dim1_sp_op_CI_CI ; -- Begin function bluestein_single_back_len3456_dim1_sp_op_CI_CI
	.globl	bluestein_single_back_len3456_dim1_sp_op_CI_CI
	.p2align	8
	.type	bluestein_single_back_len3456_dim1_sp_op_CI_CI,@function
bluestein_single_back_len3456_dim1_sp_op_CI_CI: ; @bluestein_single_back_len3456_dim1_sp_op_CI_CI
; %bb.0:
	s_load_dwordx4 s[4:7], s[0:1], 0x28
	v_mul_u32_u24_e32 v1, 0x1c8, v0
	v_add_u32_sdwa v216, s2, v1 dst_sel:DWORD dst_unused:UNUSED_PAD src0_sel:DWORD src1_sel:WORD_1
	v_mov_b32_e32 v217, 0
	s_waitcnt lgkmcnt(0)
	v_cmp_gt_u64_e32 vcc, s[4:5], v[216:217]
	s_and_saveexec_b64 s[2:3], vcc
	s_cbranch_execz .LBB0_2
; %bb.1:
	s_load_dwordx4 s[12:15], s[0:1], 0x18
	s_load_dwordx4 s[8:11], s[0:1], 0x0
	v_mov_b32_e32 v2, s6
	v_mov_b32_e32 v3, s7
	s_movk_i32 s2, 0x90
	s_waitcnt lgkmcnt(0)
	s_load_dwordx4 s[4:7], s[14:15], 0x0
	v_mul_lo_u16_sdwa v1, v1, s2 dst_sel:DWORD dst_unused:UNUSED_PAD src0_sel:WORD_1 src1_sel:DWORD
	s_load_dwordx4 s[12:15], s[12:13], 0x0
	v_sub_u16_e32 v120, v0, v1
	s_movk_i32 s19, 0x1000
	s_waitcnt lgkmcnt(0)
	v_mad_u64_u32 v[4:5], s[2:3], s6, v216, 0
	v_mov_b32_e32 v0, v5
	v_mad_u64_u32 v[0:1], s[2:3], s7, v216, v[0:1]
	v_accvgpr_write_b32 a2, v0
	v_mad_u64_u32 v[0:1], s[2:3], s14, v216, 0
	v_accvgpr_write_b32 a0, v4
	v_mov_b32_e32 v4, v1
	v_mad_u64_u32 v[4:5], s[2:3], s15, v216, v[4:5]
	v_mov_b32_e32 v1, v4
	v_mad_u64_u32 v[4:5], s[2:3], s12, v120, 0
	v_mov_b32_e32 v6, v5
	v_lshlrev_b32_e32 v216, 3, v120
	v_mad_u64_u32 v[6:7], s[2:3], s13, v120, v[6:7]
	v_lshl_add_u64 v[2:3], v[0:1], 3, v[2:3]
	v_lshl_add_u64 v[0:1], s[8:9], 0, v[216:217]
	v_mov_b32_e32 v5, v6
	v_add_co_u32_e32 v12, vcc, s19, v0
	v_lshl_add_u64 v[4:5], v[4:5], 3, v[2:3]
	v_mov_b32_e32 v160, 0x1200
	v_addc_co_u32_e32 v13, vcc, 0, v1, vcc
	s_movk_i32 s18, 0x2000
	global_load_dwordx2 v[16:17], v[4:5], off
	v_mad_u64_u32 v[4:5], s[2:3], s12, v160, v[4:5]
	v_add_co_u32_e32 v8, vcc, s18, v0
	s_mul_i32 s2, s13, 0x1200
	s_nop 0
	v_addc_co_u32_e32 v9, vcc, 0, v1, vcc
	global_load_dwordx2 v[38:39], v216, s[8:9]
	v_add_u32_e32 v5, s2, v5
	global_load_dwordx2 v[36:37], v[12:13], off offset:512
	global_load_dwordx2 v[32:33], v[8:9], off offset:1024
	global_load_dwordx2 v[20:21], v[4:5], off
	v_mad_u64_u32 v[6:7], s[6:7], s12, v160, v[4:5]
	v_add_u32_e32 v7, s2, v7
	v_mad_u64_u32 v[4:5], s[6:7], s12, v160, v[6:7]
	v_or_b32_e32 v24, 0x900, v120
	v_add_u32_e32 v5, s2, v5
	global_load_dwordx2 v[14:15], v[6:7], off
	global_load_dwordx2 v[10:11], v[4:5], off
	v_mad_u64_u32 v[6:7], s[6:7], s12, v24, 0
	s_movk_i32 s17, 0x3000
	v_mov_b32_e32 v22, v7
	v_add_co_u32_e32 v18, vcc, s17, v0
	v_mad_u64_u32 v[22:23], s[6:7], s13, v24, v[22:23]
	s_nop 0
	v_addc_co_u32_e32 v19, vcc, 0, v1, vcc
	v_mov_b32_e32 v7, v22
	global_load_dwordx2 v[30:31], v[18:19], off offset:1536
	v_lshl_add_u64 v[2:3], v[6:7], 3, v[2:3]
	global_load_dwordx2 v[6:7], v[2:3], off
	v_lshlrev_b32_e32 v2, 3, v24
	global_load_dwordx2 v[28:29], v2, s[8:9]
	v_accvgpr_write_b32 a30, v2
	v_mov_b32_e32 v2, 0x2400
	s_movk_i32 s16, 0x5000
	v_mad_u64_u32 v[22:23], s[6:7], s12, v2, v[4:5]
	v_add_co_u32_e32 v4, vcc, s16, v0
	s_mul_i32 s3, s13, 0x2400
	s_nop 0
	v_addc_co_u32_e32 v5, vcc, 0, v1, vcc
	v_add_u32_e32 v23, s3, v23
	global_load_dwordx2 v[26:27], v[4:5], off offset:2560
	global_load_dwordx2 v[2:3], v[22:23], off
	global_load_dwordx2 v[34:35], v216, s[8:9] offset:1152
	global_load_dwordx2 v[48:49], v216, s[8:9] offset:2304
	;; [unrolled: 1-line block ×3, first 2 shown]
	global_load_dwordx2 v[176:177], v[12:13], off offset:1664
	global_load_dwordx2 v[212:213], v[12:13], off offset:2816
	;; [unrolled: 1-line block ×3, first 2 shown]
	s_add_u32 s14, s8, 0x6c00
	s_mul_i32 s3, s13, 0xffffaa80
	s_addc_u32 s15, s9, 0
	s_sub_i32 s3, s3, s12
	v_accvgpr_write_b32 a1, v24
	s_movk_i32 s13, 0x4000
	s_movk_i32 s20, 0x6000
	v_add_u32_e32 v161, 0x800, v216
	v_add_u32_e32 v188, 0x2400, v216
	;; [unrolled: 1-line block ×3, first 2 shown]
	s_mov_b32 s8, 0.5
	s_mov_b64 s[22:23], 0x90
	s_movk_i32 s21, 0xab
	s_load_dwordx2 s[0:1], s[0:1], 0x38
	s_waitcnt vmcnt(16)
	v_mul_f32_e32 v24, v17, v39
	v_mul_f32_e32 v25, v16, v39
	v_fmac_f32_e32 v24, v16, v38
	s_waitcnt vmcnt(13)
	v_mul_f32_e32 v12, v21, v37
	v_mul_f32_e32 v13, v20, v37
	v_fmac_f32_e32 v12, v20, v36
	v_fma_f32 v13, v21, v36, -v13
	ds_write_b64 v216, v[12:13] offset:4608
	global_load_dwordx2 v[178:179], v[8:9], off offset:2176
	global_load_dwordx2 v[214:215], v[8:9], off offset:3328
	;; [unrolled: 1-line block ×3, first 2 shown]
	v_mov_b32_e32 v9, 0xffffaa80
	v_mad_u64_u32 v[12:13], s[6:7], s12, v9, v[22:23]
	v_add_u32_e32 v13, s3, v13
	v_fma_f32 v25, v17, v38, -v25
	global_load_dwordx2 v[16:17], v[12:13], off
	s_waitcnt vmcnt(16)
	v_mul_f32_e32 v8, v15, v33
	v_mul_f32_e32 v9, v14, v33
	v_fmac_f32_e32 v8, v14, v32
	v_fma_f32 v9, v15, v32, -v9
	ds_write_b64 v216, v[8:9] offset:9216
	global_load_dwordx2 v[162:163], v[18:19], off offset:2688
	global_load_dwordx2 v[202:203], v[18:19], off offset:3840
	v_accvgpr_write_b32 a26, v32
	v_add_co_u32_e32 v20, vcc, s13, v0
	s_waitcnt vmcnt(16)
	v_mul_f32_e32 v8, v11, v31
	v_mul_f32_e32 v9, v10, v31
	v_fmac_f32_e32 v8, v10, v30
	v_fma_f32 v9, v11, v30, -v9
	ds_write_b64 v216, v[8:9] offset:13824
	s_waitcnt vmcnt(14)
	v_mul_f32_e32 v8, v7, v29
	v_fmac_f32_e32 v8, v6, v28
	v_mul_f32_e32 v6, v6, v29
	v_fma_f32 v9, v7, v28, -v6
	global_load_dwordx2 v[224:225], v[4:5], off offset:256
	global_load_dwordx2 v[46:47], v[4:5], off offset:1408
	ds_write_b64 v216, v[8:9] offset:18432
	v_mad_u64_u32 v[8:9], s[6:7], s12, v160, v[12:13]
	v_add_u32_e32 v9, s2, v9
	global_load_dwordx2 v[10:11], v[8:9], off
	v_mad_u64_u32 v[8:9], s[6:7], s12, v160, v[8:9]
	v_add_u32_e32 v9, s2, v9
	global_load_dwordx2 v[12:13], v[8:9], off
	;; [unrolled: 3-line block ×4, first 2 shown]
	v_mad_u64_u32 v[8:9], s[6:7], s12, v160, v[8:9]
	v_accvgpr_write_b32 a27, v33
	v_addc_co_u32_e32 v21, vcc, 0, v1, vcc
	v_add_u32_e32 v9, s2, v9
	v_mov_b32_e32 v33, 0xffffaa80
	global_load_dwordx2 v[166:167], v[20:21], off offset:3200
	global_load_dwordx2 v[22:23], v[8:9], off
	global_load_dwordx2 v[164:165], v[4:5], off offset:3712
	v_mad_u64_u32 v[4:5], s[6:7], s12, v33, v[8:9]
	v_add_u32_e32 v5, s3, v5
	v_accvgpr_write_b32 a20, v28
	s_waitcnt vmcnt(21)
	v_mul_f32_e32 v6, v3, v27
	global_load_dwordx2 v[8:9], v[4:5], off
	v_mad_u64_u32 v[4:5], s[6:7], s12, v160, v[4:5]
	v_accvgpr_write_b32 a21, v29
	v_fmac_f32_e32 v6, v2, v26
	v_mul_f32_e32 v2, v2, v27
	v_mov_b64_e32 v[28:29], v[26:27]
	v_add_u32_e32 v5, s2, v5
	global_load_dwordx2 v[26:27], v[4:5], off
	v_fma_f32 v7, v3, v28, -v2
	v_mad_u64_u32 v[2:3], s[6:7], s12, v160, v[4:5]
	v_add_u32_e32 v3, s2, v3
	global_load_dwordx2 v[4:5], v[2:3], off
	v_mad_u64_u32 v[2:3], s[6:7], s12, v160, v[2:3]
	v_add_u32_e32 v3, s2, v3
	ds_write_b64 v216, v[6:7] offset:23040
	global_load_dwordx2 v[6:7], v[2:3], off
	v_mad_u64_u32 v[2:3], s[6:7], s12, v160, v[2:3]
	v_accvgpr_write_b32 a16, v28
	v_add_u32_e32 v3, s2, v3
	v_accvgpr_write_b32 a17, v29
	global_load_dwordx2 v[28:29], v[2:3], off
	v_mad_u64_u32 v[2:3], s[6:7], s12, v160, v[2:3]
	v_add_co_u32_e32 v0, vcc, s20, v0
	v_accvgpr_write_b32 a18, v30
	v_add_u32_e32 v3, s2, v3
	v_addc_co_u32_e32 v1, vcc, 0, v1, vcc
	v_accvgpr_write_b32 a24, v36
	v_accvgpr_write_b32 a19, v31
	global_load_dwordx2 v[30:31], v[2:3], off
	global_load_dwordx2 v[204:205], v[0:1], off offset:768
	v_mad_u64_u32 v[2:3], s[6:7], s12, v33, v[2:3]
	v_accvgpr_write_b32 a25, v37
	s_waitcnt vmcnt(27)
	v_mov_b64_e32 v[36:37], v[34:35]
	v_add_u32_e32 v3, s3, v3
	s_waitcnt vmcnt(18)
	v_mul_f32_e32 v32, v17, v37
	global_load_dwordx2 v[34:35], v[2:3], off
	v_mad_u64_u32 v[2:3], s[6:7], s12, v160, v[2:3]
	v_fmac_f32_e32 v32, v16, v36
	v_mul_f32_e32 v16, v16, v37
	v_add_u32_e32 v3, s2, v3
	v_fma_f32 v33, v17, v36, -v16
	global_load_dwordx2 v[16:17], v[2:3], off
	v_mad_u64_u32 v[2:3], s[6:7], s12, v160, v[2:3]
	v_add_u32_e32 v3, s2, v3
	ds_write2_b64 v216, v[24:25], v[32:33] offset1:144
	global_load_dwordx2 v[24:25], v[2:3], off
	v_mad_u64_u32 v[2:3], s[6:7], s12, v160, v[2:3]
	v_add_u32_e32 v3, s2, v3
	global_load_dwordx2 v[32:33], v[2:3], off
	global_load_dwordx2 v[218:219], v[20:21], off offset:896
	v_mad_u64_u32 v[2:3], s[6:7], s12, v160, v[2:3]
	v_accvgpr_write_b32 a28, v36
	v_add_u32_e32 v3, s2, v3
	v_accvgpr_write_b32 a29, v37
	global_load_dwordx2 v[36:37], v[2:3], off
	v_mad_u64_u32 v[2:3], s[6:7], s12, v160, v[2:3]
	v_accvgpr_write_b32 a22, v38
	v_add_u32_e32 v3, s2, v3
	v_accvgpr_write_b32 a23, v39
	global_load_dwordx2 v[38:39], v[2:3], off
	global_load_dwordx2 v[50:51], v[0:1], off offset:1920
	s_waitcnt vmcnt(19)
	v_mul_f32_e32 v2, v15, v163
	v_fmac_f32_e32 v2, v14, v162
	v_mul_f32_e32 v3, v14, v163
	v_mul_f32_e32 v20, v11, v177
	v_fmac_f32_e32 v20, v10, v176
	v_mul_f32_e32 v0, v10, v177
	v_fma_f32 v3, v15, v162, -v3
	s_waitcnt vmcnt(17)
	v_mul_f32_e32 v10, v19, v167
	s_waitcnt vmcnt(14)
	v_mul_f32_e32 v14, v9, v49
	v_fmac_f32_e32 v14, v8, v48
	v_mul_f32_e32 v8, v8, v49
	v_fma_f32 v15, v9, v48, -v8
	v_fma_f32 v21, v11, v176, -v0
	v_fmac_f32_e32 v10, v18, v166
	v_mul_f32_e32 v11, v18, v167
	v_add_u32_e32 v18, 0x1400, v216
	s_waitcnt vmcnt(13)
	v_mul_f32_e32 v8, v27, v213
	v_mul_f32_e32 v9, v26, v213
	v_fmac_f32_e32 v8, v26, v212
	v_fma_f32 v9, v27, v212, -v9
	ds_write2_b64 v18, v[20:21], v[8:9] offset0:80 offset1:224
	s_waitcnt vmcnt(12)
	v_mul_f32_e32 v8, v5, v215
	v_mul_f32_e32 v0, v13, v179
	;; [unrolled: 1-line block ×3, first 2 shown]
	v_fmac_f32_e32 v8, v4, v214
	v_mul_f32_e32 v4, v4, v215
	v_fmac_f32_e32 v0, v12, v178
	v_fma_f32 v1, v13, v178, -v1
	v_fma_f32 v9, v5, v214, -v4
	v_add_u32_e32 v4, 0x2800, v216
	ds_write2_b64 v4, v[0:1], v[8:9] offset0:16 offset1:160
	s_waitcnt vmcnt(11)
	v_mul_f32_e32 v0, v7, v203
	v_mul_f32_e32 v1, v6, v203
	v_accvgpr_write_b32 a32, v4
	v_fmac_f32_e32 v0, v6, v202
	v_fma_f32 v1, v7, v202, -v1
	v_add_u32_e32 v4, 0x3800, v216
	ds_write2_b64 v4, v[2:3], v[0:1] offset0:80 offset1:224
	s_waitcnt vmcnt(10)
	v_mul_f32_e32 v0, v29, v225
	v_mul_f32_e32 v1, v28, v225
	v_fma_f32 v11, v19, v166, -v11
	v_fmac_f32_e32 v0, v28, v224
	v_fma_f32 v1, v29, v224, -v1
	v_add_u32_e32 v2, 0x4c00, v216
	v_mul_f32_e32 v12, v23, v165
	v_mul_f32_e32 v13, v22, v165
	ds_write2_b64 v2, v[10:11], v[0:1] offset0:16 offset1:160
	s_waitcnt vmcnt(8)
	v_mul_f32_e32 v0, v31, v205
	v_mul_f32_e32 v1, v30, v205
	v_fmac_f32_e32 v12, v22, v164
	v_fma_f32 v13, v23, v164, -v13
	v_accvgpr_write_b32 a33, v2
	v_fmac_f32_e32 v0, v30, v204
	v_fma_f32 v1, v31, v204, -v1
	v_add_u32_e32 v2, 0x5c00, v216
	ds_write2_b64 v2, v[12:13], v[0:1] offset0:80 offset1:224
	s_waitcnt vmcnt(7)
	v_mul_f32_e32 v0, v35, v41
	v_mul_f32_e32 v1, v34, v41
	v_fmac_f32_e32 v0, v34, v40
	v_fma_f32 v1, v35, v40, -v1
	ds_write2_b64 v161, v[14:15], v[0:1] offset0:32 offset1:176
	s_waitcnt vmcnt(6)
	v_mul_f32_e32 v0, v17, v43
	v_mul_f32_e32 v1, v16, v43
	v_fmac_f32_e32 v0, v16, v42
	v_fma_f32 v1, v17, v42, -v1
	ds_write_b64 v216, v[0:1] offset:8064
	s_waitcnt vmcnt(5)
	v_mul_f32_e32 v0, v25, v45
	v_mul_f32_e32 v1, v24, v45
	v_fmac_f32_e32 v0, v24, v44
	v_fma_f32 v1, v25, v44, -v1
	ds_write_b64 v216, v[0:1] offset:12672
	s_waitcnt vmcnt(3)
	v_mul_f32_e32 v0, v33, v219
	v_mul_f32_e32 v1, v32, v219
	v_fmac_f32_e32 v0, v32, v218
	v_fma_f32 v1, v33, v218, -v1
	ds_write_b64 v216, v[0:1] offset:17280
	s_waitcnt vmcnt(2)
	v_mul_f32_e32 v0, v37, v47
	v_mul_f32_e32 v1, v36, v47
	v_fmac_f32_e32 v0, v36, v46
	v_fma_f32 v1, v37, v46, -v1
	ds_write_b64 v216, v[0:1] offset:21888
	s_waitcnt vmcnt(0)
	v_mul_f32_e32 v0, v39, v51
	v_mul_f32_e32 v1, v38, v51
	v_fmac_f32_e32 v0, v38, v50
	v_fma_f32 v1, v39, v50, -v1
	v_add_u32_e32 v8, 0x1000, v216
	v_add_u32_e32 v16, 0x3400, v216
	v_accvgpr_write_b32 a31, v18
	v_accvgpr_write_b32 a3, v4
	ds_write_b64 v216, v[0:1] offset:26496
	s_waitcnt lgkmcnt(0)
	s_barrier
	ds_read2_b64 v[4:7], v8 offset0:64 offset1:208
	v_mov_b32_e32 v236, v8
	ds_read2_b64 v[8:11], v188 offset1:144
	ds_read2_b64 v[12:15], v16 offset0:64 offset1:208
	v_mov_b32_e32 v123, v16
	ds_read2_b64 v[16:19], v189 offset1:144
	v_add_u32_e32 v24, 0x5800, v216
	v_accvgpr_write_b32 a34, v2
	ds_read2_b64 v[0:3], v216 offset1:144
	ds_read2_b64 v[20:23], v24 offset0:64 offset1:208
	s_waitcnt lgkmcnt(2)
	v_pk_add_f32 v[26:27], v[10:11], v[18:19]
	s_mov_b32 s6, 0x3f5db3d7
	v_mov_b32_e32 v200, v24
	s_waitcnt lgkmcnt(1)
	v_pk_add_f32 v[24:25], v[2:3], v[10:11]
	v_pk_fma_f32 v[2:3], v[26:27], 0.5, v[2:3] op_sel_hi:[1,0,1] neg_lo:[1,0,0] neg_hi:[1,0,0]
	v_pk_add_f32 v[10:11], v[10:11], v[18:19] neg_lo:[0,1] neg_hi:[0,1]
	s_mov_b32 s7, 0xbf5db3d7
	s_waitcnt lgkmcnt(0)
	v_pk_add_f32 v[26:27], v[14:15], v[22:23]
	v_accvgpr_write_b32 a8, v44
	v_pk_add_f32 v[30:31], v[24:25], v[18:19]
	v_pk_add_f32 v[24:25], v[6:7], v[14:15]
	v_pk_mul_f32 v[10:11], v[10:11], s[6:7] op_sel_hi:[1,0]
	v_pk_fma_f32 v[6:7], v[26:27], 0.5, v[6:7] op_sel_hi:[1,0,1] neg_lo:[1,0,0] neg_hi:[1,0,0]
	v_pk_add_f32 v[14:15], v[14:15], v[22:23] neg_lo:[0,1] neg_hi:[0,1]
	v_accvgpr_write_b32 a9, v45
	v_pk_add_f32 v[44:45], v[24:25], v[22:23]
	v_pk_add_f32 v[18:19], v[2:3], v[10:11] op_sel:[0,1] op_sel_hi:[1,0]
	v_pk_add_f32 v[2:3], v[2:3], v[10:11] op_sel:[0,1] op_sel_hi:[1,0] neg_lo:[0,1] neg_hi:[0,1]
	v_pk_fma_f32 v[22:23], v[14:15], s[6:7], v[6:7] op_sel:[0,0,1] op_sel_hi:[1,0,0]
	s_mov_b32 s9, s6
	v_mov_b32_e32 v10, v18
	v_mov_b32_e32 v11, v3
	v_pk_fma_f32 v[6:7], v[14:15], s[6:7], v[6:7] op_sel:[0,0,1] op_sel_hi:[1,0,0] neg_lo:[1,0,0] neg_hi:[1,0,0]
	v_mov_b32_e32 v3, v19
	v_pk_mul_f32 v[18:19], v[22:23], s[8:9] op_sel:[1,0]
	s_mov_b32 s2, s6
	s_mov_b32 s3, s8
	v_mov_b32_e32 v14, v22
	v_mov_b32_e32 v15, v7
	v_pk_fma_f32 v[22:23], v[6:7], s[2:3], v[18:19]
	v_pk_fma_f32 v[6:7], v[6:7], s[2:3], v[18:19] op_sel_hi:[0,1,1] neg_lo:[0,0,1] neg_hi:[0,0,1]
	v_add_u32_e32 v6, 0x2c00, v216
	ds_read2_b64 v[32:35], v6 offset0:32 offset1:176
	v_mov_b32_e32 v201, v6
	v_add_u32_e32 v6, 0x5000, v216
	v_accvgpr_write_b32 a12, v40
	v_accvgpr_write_b32 a10, v42
	v_pk_mul_f32 v[26:27], v[14:15], 0.5 op_sel_hi:[1,0]
	v_mov_b32_e32 v23, v7
	ds_read2_b64 v[36:39], v6 offset0:32 offset1:176
	v_accvgpr_write_b32 a14, v48
	v_accvgpr_write_b32 a13, v41
	;; [unrolled: 1-line block ×5, first 2 shown]
	v_pk_add_f32 v[24:25], v[30:31], v[44:45]
	v_pk_fma_f32 v[14:15], v[14:15], s[6:7], v[26:27] op_sel:[0,0,1] op_sel_hi:[1,1,0] neg_lo:[0,0,1] neg_hi:[0,0,1]
	v_pk_add_f32 v[26:27], v[10:11], v[22:23]
	ds_read2_b64 v[40:43], v161 offset0:32 offset1:176
	v_pk_add_f32 v[30:31], v[30:31], v[44:45] neg_lo:[0,1] neg_hi:[0,1]
	v_pk_add_f32 v[44:45], v[10:11], v[22:23] neg_lo:[0,1] neg_hi:[0,1]
	v_add_u32_e32 v11, 0x3c00, v216
	v_add_u32_e32 v10, 0x6000, v216
	v_accvgpr_write_b32 a15, v49
	v_accvgpr_write_b32 a7, v47
	;; [unrolled: 1-line block ×3, first 2 shown]
	v_pk_add_f32 v[28:29], v[2:3], v[14:15]
	v_pk_add_f32 v[46:47], v[2:3], v[14:15] neg_lo:[0,1] neg_hi:[0,1]
	v_add_u32_e32 v14, 0x1800, v216
	ds_read2_b64 v[48:51], v11 offset0:96 offset1:240
	ds_read2_b64 v[52:55], v10 offset0:96 offset1:240
	;; [unrolled: 1-line block ×3, first 2 shown]
	v_mov_b32_e32 v221, v6
	s_waitcnt lgkmcnt(4)
	v_pk_add_f32 v[2:3], v[32:33], v[36:37]
	v_pk_add_f32 v[6:7], v[32:33], v[36:37] neg_lo:[0,1] neg_hi:[0,1]
	s_waitcnt lgkmcnt(3)
	v_pk_fma_f32 v[2:3], v[2:3], 0.5, v[40:41] op_sel_hi:[1,0,1] neg_lo:[1,0,0] neg_hi:[1,0,0]
	v_pk_mul_f32 v[6:7], v[6:7], s[6:7] op_sel_hi:[1,0]
	v_mov_b32_e32 v107, v11
	v_mov_b32_e32 v220, v10
	v_pk_add_f32 v[10:11], v[2:3], v[6:7] op_sel:[0,1] op_sel_hi:[1,0]
	v_pk_add_f32 v[2:3], v[2:3], v[6:7] op_sel:[0,1] op_sel_hi:[1,0] neg_lo:[0,1] neg_hi:[0,1]
	s_waitcnt lgkmcnt(1)
	v_pk_add_f32 v[6:7], v[48:49], v[52:53]
	v_mov_b32_e32 v122, v14
	s_waitcnt lgkmcnt(0)
	v_pk_fma_f32 v[6:7], v[6:7], 0.5, v[56:57] op_sel_hi:[1,0,1] neg_lo:[1,0,0] neg_hi:[1,0,0]
	v_pk_add_f32 v[14:15], v[48:49], v[52:53] neg_lo:[0,1] neg_hi:[0,1]
	s_nop 0
	v_pk_fma_f32 v[18:19], v[14:15], s[6:7], v[6:7] op_sel:[0,0,1] op_sel_hi:[1,0,0]
	v_pk_fma_f32 v[6:7], v[14:15], s[6:7], v[6:7] op_sel:[0,0,1] op_sel_hi:[1,0,0] neg_lo:[1,0,0] neg_hi:[1,0,0]
	v_mov_b32_e32 v14, v18
	v_mov_b32_e32 v15, v7
	v_pk_mul_f32 v[22:23], v[14:15], 0.5 op_sel_hi:[1,0]
	s_barrier
	v_pk_fma_f32 v[14:15], v[14:15], s[6:7], v[22:23] op_sel:[0,0,1] op_sel_hi:[1,1,0] neg_lo:[0,0,1] neg_hi:[0,0,1]
	v_mov_b32_e32 v22, v10
	v_mov_b32_e32 v23, v3
	;; [unrolled: 1-line block ×3, first 2 shown]
	v_pk_mul_f32 v[10:11], v[18:19], s[8:9] op_sel:[1,0]
	v_pk_add_f32 v[64:65], v[2:3], v[14:15]
	v_pk_fma_f32 v[18:19], v[6:7], s[2:3], v[10:11]
	v_pk_fma_f32 v[6:7], v[6:7], s[2:3], v[10:11] op_sel_hi:[0,1,1] neg_lo:[0,0,1] neg_hi:[0,0,1]
	v_mov_b32_e32 v19, v7
	v_pk_add_f32 v[6:7], v[40:41], v[32:33]
	v_pk_add_f32 v[10:11], v[56:57], v[48:49]
	;; [unrolled: 1-line block ×4, first 2 shown]
	v_pk_add_f32 v[70:71], v[2:3], v[14:15] neg_lo:[0,1] neg_hi:[0,1]
	v_pk_add_f32 v[2:3], v[0:1], v[8:9]
	v_pk_add_f32 v[60:61], v[6:7], v[10:11]
	v_pk_add_f32 v[66:67], v[6:7], v[10:11] neg_lo:[0,1] neg_hi:[0,1]
	v_pk_add_f32 v[10:11], v[2:3], v[16:17]
	v_pk_add_f32 v[2:3], v[4:5], v[12:13]
	;; [unrolled: 1-line block ×4, first 2 shown]
	v_pk_add_f32 v[8:9], v[8:9], v[16:17] neg_lo:[0,1] neg_hi:[0,1]
	v_pk_add_f32 v[12:13], v[12:13], v[20:21] neg_lo:[0,1] neg_hi:[0,1]
	v_pk_add_f32 v[16:17], v[2:3], v[20:21]
	v_pk_fma_f32 v[2:3], v[14:15], 0.5, v[4:5] op_sel_hi:[1,0,1] neg_lo:[1,0,0] neg_hi:[1,0,0]
	v_pk_fma_f32 v[0:1], v[6:7], 0.5, v[0:1] op_sel_hi:[1,0,1] neg_lo:[1,0,0] neg_hi:[1,0,0]
	v_pk_mul_f32 v[4:5], v[8:9], s[6:7] op_sel_hi:[1,0]
	v_pk_fma_f32 v[8:9], v[12:13], s[6:7], v[2:3] op_sel:[0,0,1] op_sel_hi:[1,0,0]
	v_pk_add_f32 v[6:7], v[0:1], v[4:5] op_sel:[0,1] op_sel_hi:[1,0]
	v_pk_add_f32 v[4:5], v[0:1], v[4:5] op_sel:[0,1] op_sel_hi:[1,0] neg_lo:[0,1] neg_hi:[0,1]
	v_pk_fma_f32 v[12:13], v[12:13], s[6:7], v[2:3] op_sel:[0,0,1] op_sel_hi:[1,0,0] neg_lo:[1,0,0] neg_hi:[1,0,0]
	v_pk_mul_f32 v[0:1], v[8:9], s[8:9] op_sel:[1,0]
	v_pk_add_f32 v[62:63], v[22:23], v[18:19]
	v_pk_fma_f32 v[14:15], v[12:13], s[2:3], v[0:1]
	v_pk_fma_f32 v[0:1], v[12:13], s[2:3], v[0:1] op_sel_hi:[0,1,1] neg_lo:[0,0,1] neg_hi:[0,0,1]
	v_pk_add_f32 v[68:69], v[22:23], v[18:19] neg_lo:[0,1] neg_hi:[0,1]
	v_mov_b32_e32 v15, v1
	v_mul_lo_u16_e32 v0, 6, v120
	v_mov_b32_e32 v18, v6
	v_mov_b32_e32 v19, v5
	v_lshlrev_b32_e32 v193, 3, v0
	v_pk_add_f32 v[0:1], v[10:11], v[16:17]
	v_pk_add_f32 v[2:3], v[18:19], v[14:15]
	v_mov_b32_e32 v12, v8
	ds_write_b128 v193, v[0:3]
	v_pk_mul_f32 v[0:1], v[12:13], 0.5 op_sel_hi:[1,0]
	v_mov_b32_e32 v5, v7
	v_pk_fma_f32 v[8:9], v[12:13], s[6:7], v[0:1] op_sel:[0,0,1] op_sel_hi:[1,1,0] neg_lo:[0,0,1] neg_hi:[0,0,1]
	v_pk_add_f32 v[2:3], v[10:11], v[16:17] neg_lo:[0,1] neg_hi:[0,1]
	v_pk_add_f32 v[0:1], v[4:5], v[8:9]
	ds_write_b128 v193, v[0:3] offset:16
	v_pk_add_f32 v[0:1], v[18:19], v[14:15] neg_lo:[0,1] neg_hi:[0,1]
	v_pk_add_f32 v[2:3], v[4:5], v[8:9] neg_lo:[0,1] neg_hi:[0,1]
	ds_write_b128 v193, v[0:3] offset:32
	v_pk_add_f32 v[2:3], v[34:35], v[38:39]
	v_pk_add_f32 v[4:5], v[34:35], v[38:39] neg_lo:[0,1] neg_hi:[0,1]
	s_mov_b32 s12, 0
	v_pk_fma_f32 v[2:3], v[2:3], 0.5, v[42:43] op_sel_hi:[1,0,1] neg_lo:[1,0,0] neg_hi:[1,0,0]
	v_pk_mul_f32 v[4:5], v[4:5], s[6:7] op_sel_hi:[1,0]
	v_mov_b32_e32 v121, s12
	v_pk_add_f32 v[10:11], v[2:3], v[4:5] op_sel:[0,1] op_sel_hi:[1,0]
	v_pk_add_f32 v[12:13], v[2:3], v[4:5] op_sel:[0,1] op_sel_hi:[1,0] neg_lo:[0,1] neg_hi:[0,1]
	v_pk_add_f32 v[2:3], v[50:51], v[54:55]
	v_lshl_add_u64 v[72:73], v[120:121], 0, s[22:23]
	s_mov_b64 s[22:23], 0x120
	v_pk_fma_f32 v[2:3], v[2:3], 0.5, v[58:59] op_sel_hi:[1,0,1] neg_lo:[1,0,0] neg_hi:[1,0,0]
	v_pk_add_f32 v[4:5], v[50:51], v[54:55] neg_lo:[0,1] neg_hi:[0,1]
	v_mul_u32_u24_e32 v0, 6, v72
	v_lshl_add_u64 v[32:33], v[120:121], 0, s[22:23]
	s_mov_b64 s[22:23], 0x1b0
	v_pk_fma_f32 v[16:17], v[4:5], s[6:7], v[2:3] op_sel:[0,0,1] op_sel_hi:[1,0,0]
	v_pk_fma_f32 v[2:3], v[4:5], s[6:7], v[2:3] op_sel:[0,0,1] op_sel_hi:[1,0,0] neg_lo:[1,0,0] neg_hi:[1,0,0]
	v_lshlrev_b32_e32 v195, 3, v0
	v_lshl_add_u64 v[74:75], v[120:121], 0, s[22:23]
	v_mul_u32_u24_e32 v0, 6, v32
	v_mov_b32_e32 v4, v16
	v_mov_b32_e32 v5, v3
	v_lshlrev_b32_e32 v121, 3, v0
	v_mul_u32_u24_e32 v0, 6, v74
	v_pk_mul_f32 v[18:19], v[4:5], 0.5 op_sel_hi:[1,0]
	v_lshlrev_b32_e32 v192, 3, v0
	v_pk_add_f32 v[0:1], v[42:43], v[34:35]
	v_pk_fma_f32 v[18:19], v[4:5], s[6:7], v[18:19] op_sel:[0,0,1] op_sel_hi:[1,1,0] neg_lo:[0,0,1] neg_hi:[0,0,1]
	v_pk_mul_f32 v[4:5], v[16:17], s[8:9] op_sel:[1,0]
	v_pk_add_f32 v[6:7], v[0:1], v[38:39]
	v_pk_add_f32 v[0:1], v[58:59], v[50:51]
	v_mov_b32_e32 v14, v10
	v_mov_b32_e32 v15, v13
	;; [unrolled: 1-line block ×3, first 2 shown]
	v_pk_fma_f32 v[10:11], v[2:3], s[2:3], v[4:5]
	v_pk_fma_f32 v[2:3], v[2:3], s[2:3], v[4:5] op_sel_hi:[0,1,1] neg_lo:[0,0,1] neg_hi:[0,0,1]
	v_pk_add_f32 v[8:9], v[0:1], v[54:55]
	v_mov_b32_e32 v11, v3
	v_pk_add_f32 v[0:1], v[6:7], v[8:9]
	v_pk_add_f32 v[2:3], v[14:15], v[10:11]
	ds_write_b128 v195, v[24:27]
	ds_write_b128 v195, v[28:31] offset:16
	ds_write_b128 v195, v[44:47] offset:32
	ds_write_b128 v121, v[60:63]
	ds_write_b128 v121, v[64:67] offset:16
	ds_write_b128 v121, v[68:71] offset:32
	ds_write_b128 v192, v[0:3]
	v_pk_add_f32 v[0:1], v[14:15], v[10:11] neg_lo:[0,1] neg_hi:[0,1]
	v_pk_add_f32 v[2:3], v[12:13], v[18:19] neg_lo:[0,1] neg_hi:[0,1]
	s_mov_b32 s12, 0xaaab
	ds_write_b128 v192, v[0:3] offset:32
	v_mul_u32_u24_sdwa v0, v74, s12 dst_sel:DWORD dst_unused:UNUSED_PAD src0_sel:WORD_0 src1_sel:DWORD
	v_lshrrev_b32_e32 v33, 18, v0
	v_mul_lo_u16_e32 v0, 6, v33
	v_sub_u16_e32 v70, v74, v0
	v_mul_lo_u16_e32 v0, 40, v70
	v_mov_b32_e32 v1, v217
	v_pk_add_f32 v[4:5], v[12:13], v[18:19]
	v_pk_add_f32 v[6:7], v[6:7], v[8:9] neg_lo:[0,1] neg_hi:[0,1]
	v_lshl_add_u64 v[0:1], s[10:11], 0, v[0:1]
	ds_write_b128 v192, v[4:7] offset:16
	s_waitcnt lgkmcnt(0)
	s_barrier
	v_mul_u32_u24_sdwa v2, v32, s12 dst_sel:DWORD dst_unused:UNUSED_PAD src0_sel:WORD_0 src1_sel:DWORD
	global_load_dwordx4 v[156:159], v[0:1], off
	v_lshrrev_b32_e32 v71, 18, v2
	v_mul_lo_u16_e32 v2, 6, v71
	v_sub_u16_e32 v73, v32, v2
	v_mul_lo_u16_e32 v2, 40, v73
	v_mov_b32_e32 v3, v217
	v_lshl_add_u64 v[2:3], s[10:11], 0, v[2:3]
	global_load_dwordx4 v[180:183], v[2:3], off
	global_load_dwordx4 v[152:155], v[0:1], off offset:16
	global_load_dwordx4 v[148:151], v[2:3], off offset:16
	global_load_dwordx2 v[170:171], v[0:1], off offset:32
	global_load_dwordx2 v[168:169], v[2:3], off offset:32
	v_mul_lo_u16_sdwa v0, v120, s21 dst_sel:DWORD dst_unused:UNUSED_PAD src0_sel:BYTE_0 src1_sel:DWORD
	v_lshrrev_b16_e32 v75, 10, v0
	v_mul_u32_u24_sdwa v0, v72, s12 dst_sel:DWORD dst_unused:UNUSED_PAD src0_sel:WORD_0 src1_sel:DWORD
	v_lshrrev_b32_e32 v92, 18, v0
	v_mul_lo_u16_e32 v0, 6, v92
	v_sub_u16_e32 v93, v72, v0
	v_mul_lo_u16_e32 v0, 40, v93
	v_mov_b32_e32 v1, v217
	v_mul_lo_u16_e32 v2, 6, v75
	v_lshl_add_u64 v[0:1], s[10:11], 0, v[0:1]
	global_load_dwordx4 v[242:245], v[0:1], off
	v_sub_u16_e32 v2, v120, v2
	v_and_b32_e32 v94, 0xff, v2
	v_mad_u64_u32 v[2:3], s[22:23], v94, 40, s[10:11]
	global_load_dwordx4 v[230:233], v[2:3], off
	global_load_dwordx4 v[144:147], v[0:1], off offset:16
	global_load_dwordx4 v[140:143], v[2:3], off offset:16
	ds_read2_b64 v[34:37], v122 offset0:96 offset1:240
	ds_read2_b64 v[38:41], v201 offset0:32 offset1:176
	global_load_dwordx2 v[172:173], v[0:1], off offset:32
	global_load_dwordx2 v[174:175], v[2:3], off offset:32
	ds_read2_b64 v[42:45], v107 offset0:96 offset1:240
	ds_read2_b64 v[66:69], v221 offset0:32 offset1:176
	;; [unrolled: 1-line block ×3, first 2 shown]
	s_mov_b32 s12, 0xe38f
	s_waitcnt vmcnt(11) lgkmcnt(4)
	v_pk_mul_f32 v[4:5], v[36:37], v[156:157] op_sel_hi:[1,0]
	s_nop 0
	v_pk_fma_f32 v[2:3], v[36:37], v[156:157], v[4:5] op_sel:[0,1,1] op_sel_hi:[1,1,0] neg_lo:[1,0,0] neg_hi:[1,0,0]
	v_mov_b32_e32 v0, v157
	v_mov_b32_e32 v194, v159
	s_waitcnt vmcnt(10)
	v_pk_mul_f32 v[6:7], v[34:35], v[180:181] op_sel_hi:[1,0]
	v_mov_b32_e32 v2, v181
	v_pk_fma_f32 v[0:1], v[36:37], v[0:1], v[4:5] op_sel:[0,0,1] op_sel_hi:[1,1,0]
	s_waitcnt lgkmcnt(3)
	v_pk_mul_f32 v[4:5], v[40:41], v[194:195] op_sel_hi:[1,0]
	v_pk_fma_f32 v[50:51], v[34:35], v[2:3], v[6:7] op_sel:[0,0,1] op_sel_hi:[1,1,0]
	v_mov_b32_e32 v2, v183
	v_pk_fma_f32 v[36:37], v[40:41], v[158:159], v[4:5] op_sel:[0,0,1] op_sel_hi:[1,1,0] neg_lo:[0,0,1] neg_hi:[0,0,1]
	v_pk_fma_f32 v[40:41], v[40:41], v[158:159], v[4:5] op_sel:[0,0,1] op_sel_hi:[1,0,0]
	v_pk_mul_f32 v[4:5], v[38:39], v[2:3] op_sel_hi:[1,0]
	s_waitcnt vmcnt(9)
	v_mov_b32_e32 v2, v153
	v_pk_fma_f32 v[52:53], v[38:39], v[182:183], v[4:5] op_sel:[0,0,1] op_sel_hi:[1,1,0] neg_lo:[0,0,1] neg_hi:[0,0,1]
	v_pk_fma_f32 v[60:61], v[38:39], v[182:183], v[4:5] op_sel:[0,0,1] op_sel_hi:[1,0,0]
	s_waitcnt lgkmcnt(2)
	v_pk_mul_f32 v[4:5], v[44:45], v[152:153] op_sel_hi:[1,0]
	v_pk_fma_f32 v[56:57], v[34:35], v[180:181], v[6:7] op_sel:[0,1,1] op_sel_hi:[1,1,0] neg_lo:[1,0,0] neg_hi:[1,0,0]
	v_pk_fma_f32 v[34:35], v[44:45], v[2:3], v[4:5] op_sel:[0,0,1] op_sel_hi:[1,1,0]
	v_pk_fma_f32 v[44:45], v[44:45], v[152:153], v[4:5] op_sel:[0,1,1] op_sel_hi:[1,1,0] neg_lo:[1,0,0] neg_hi:[1,0,0]
	s_waitcnt vmcnt(8)
	v_pk_mul_f32 v[4:5], v[42:43], v[148:149] op_sel_hi:[1,0]
	v_mov_b32_e32 v2, v149
	v_pk_fma_f32 v[54:55], v[42:43], v[2:3], v[4:5] op_sel:[0,0,1] op_sel_hi:[1,1,0]
	v_mov_b32_e32 v2, v155
	v_pk_fma_f32 v[64:65], v[42:43], v[148:149], v[4:5] op_sel:[0,1,1] op_sel_hi:[1,1,0] neg_lo:[1,0,0] neg_hi:[1,0,0]
	s_waitcnt lgkmcnt(1)
	v_pk_mul_f32 v[4:5], v[68:69], v[2:3] op_sel_hi:[1,0]
	v_mov_b32_e32 v2, v151
	v_pk_fma_f32 v[38:39], v[68:69], v[154:155], v[4:5] op_sel:[0,0,1] op_sel_hi:[1,1,0] neg_lo:[0,0,1] neg_hi:[0,0,1]
	v_pk_fma_f32 v[46:47], v[68:69], v[154:155], v[4:5] op_sel:[0,0,1] op_sel_hi:[1,0,0]
	v_pk_mul_f32 v[4:5], v[66:67], v[2:3] op_sel_hi:[1,0]
	s_waitcnt vmcnt(7)
	v_mov_b32_e32 v2, v171
	v_pk_fma_f32 v[58:59], v[66:67], v[150:151], v[4:5] op_sel:[0,0,1] op_sel_hi:[1,1,0] neg_lo:[0,0,1] neg_hi:[0,0,1]
	v_pk_fma_f32 v[66:67], v[66:67], v[150:151], v[4:5] op_sel:[0,0,1] op_sel_hi:[1,0,0]
	s_waitcnt lgkmcnt(0)
	v_pk_mul_f32 v[4:5], v[78:79], v[170:171] op_sel_hi:[1,0]
	v_mul_u32_u24_e32 v1, 36, v75
	v_pk_fma_f32 v[42:43], v[78:79], v[2:3], v[4:5] op_sel:[0,0,1] op_sel_hi:[1,1,0]
	v_pk_fma_f32 v[48:49], v[78:79], v[170:171], v[4:5] op_sel:[0,1,1] op_sel_hi:[1,1,0] neg_lo:[1,0,0] neg_hi:[1,0,0]
	ds_read2_b64 v[78:81], v236 offset0:64 offset1:208
	s_waitcnt vmcnt(6)
	v_pk_mul_f32 v[4:5], v[76:77], v[168:169] op_sel_hi:[1,0]
	v_mov_b32_e32 v2, v169
	v_pk_fma_f32 v[62:63], v[76:77], v[2:3], v[4:5] op_sel:[0,0,1] op_sel_hi:[1,1,0]
	v_pk_fma_f32 v[68:69], v[76:77], v[168:169], v[4:5] op_sel:[0,1,1] op_sel_hi:[1,1,0] neg_lo:[1,0,0] neg_hi:[1,0,0]
	s_waitcnt vmcnt(5) lgkmcnt(0)
	v_pk_mul_f32 v[4:5], v[80:81], v[242:243] op_sel_hi:[1,0]
	v_mov_b32_e32 v2, v243
	v_pk_fma_f32 v[6:7], v[80:81], v[2:3], v[4:5] op_sel:[0,0,1] op_sel_hi:[1,1,0]
	v_pk_fma_f32 v[4:5], v[80:81], v[242:243], v[4:5] op_sel:[0,1,1] op_sel_hi:[1,1,0] neg_lo:[1,0,0] neg_hi:[1,0,0]
	ds_read2_b64 v[80:83], v188 offset1:144
	s_waitcnt vmcnt(4)
	v_pk_mul_f32 v[8:9], v[78:79], v[230:231] op_sel:[0,1]
	v_mov_b32_e32 v2, v245
	v_pk_fma_f32 v[10:11], v[78:79], v[230:231], v[8:9] op_sel:[0,0,1] op_sel_hi:[1,1,0] neg_lo:[0,0,1] neg_hi:[0,0,1]
	v_pk_fma_f32 v[8:9], v[78:79], v[230:231], v[8:9] op_sel:[0,0,1] op_sel_hi:[1,0,0]
	ds_read2_b64 v[76:79], v123 offset0:64 offset1:208
	s_waitcnt lgkmcnt(1)
	v_pk_mul_f32 v[12:13], v[82:83], v[2:3] op_sel_hi:[1,0]
	v_mov_b32_e32 v2, v233
	v_pk_mul_f32 v[16:17], v[80:81], v[2:3] op_sel_hi:[1,0]
	s_waitcnt vmcnt(3)
	v_mov_b32_e32 v2, v145
	s_waitcnt lgkmcnt(0)
	v_pk_mul_f32 v[20:21], v[78:79], v[144:145] op_sel_hi:[1,0]
	v_pk_fma_f32 v[18:19], v[80:81], v[232:233], v[16:17] op_sel:[0,0,1] op_sel_hi:[1,1,0] neg_lo:[0,0,1] neg_hi:[0,0,1]
	v_pk_fma_f32 v[16:17], v[80:81], v[232:233], v[16:17] op_sel:[0,0,1] op_sel_hi:[1,0,0]
	v_pk_fma_f32 v[22:23], v[78:79], v[2:3], v[20:21] op_sel:[0,0,1] op_sel_hi:[1,1,0]
	v_pk_fma_f32 v[20:21], v[78:79], v[144:145], v[20:21] op_sel:[0,1,1] op_sel_hi:[1,1,0] neg_lo:[1,0,0] neg_hi:[1,0,0]
	ds_read2_b64 v[78:81], v189 offset1:144
	v_mov_b32_e32 v2, v147
	v_pk_fma_f32 v[14:15], v[82:83], v[244:245], v[12:13] op_sel:[0,0,1] op_sel_hi:[1,1,0] neg_lo:[0,0,1] neg_hi:[0,0,1]
	v_pk_fma_f32 v[12:13], v[82:83], v[244:245], v[12:13] op_sel:[0,0,1] op_sel_hi:[1,0,0]
	s_waitcnt vmcnt(2)
	v_pk_mul_f32 v[24:25], v[76:77], v[140:141] op_sel:[0,1]
	s_waitcnt lgkmcnt(0)
	v_pk_mul_f32 v[28:29], v[80:81], v[2:3] op_sel_hi:[1,0]
	v_mov_b32_e32 v2, v143
	v_pk_fma_f32 v[30:31], v[80:81], v[146:147], v[28:29] op_sel:[0,0,1] op_sel_hi:[1,1,0] neg_lo:[0,0,1] neg_hi:[0,0,1]
	v_pk_fma_f32 v[28:29], v[80:81], v[146:147], v[28:29] op_sel:[0,0,1] op_sel_hi:[1,0,0]
	ds_read2_b64 v[80:83], v200 offset0:64 offset1:208
	v_pk_fma_f32 v[26:27], v[76:77], v[140:141], v[24:25] op_sel:[0,0,1] op_sel_hi:[1,1,0] neg_lo:[0,0,1] neg_hi:[0,0,1]
	v_pk_fma_f32 v[24:25], v[76:77], v[140:141], v[24:25] op_sel:[0,0,1] op_sel_hi:[1,0,0]
	v_pk_mul_f32 v[76:77], v[78:79], v[2:3] op_sel_hi:[1,0]
	s_waitcnt vmcnt(1)
	v_mov_b32_e32 v2, v173
	v_pk_fma_f32 v[84:85], v[78:79], v[142:143], v[76:77] op_sel:[0,0,1] op_sel_hi:[1,1,0] neg_lo:[0,0,1] neg_hi:[0,0,1]
	v_pk_fma_f32 v[86:87], v[78:79], v[142:143], v[76:77] op_sel:[0,0,1] op_sel_hi:[1,0,0]
	s_waitcnt lgkmcnt(0)
	v_pk_mul_f32 v[76:77], v[82:83], v[172:173] op_sel_hi:[1,0]
	v_mov_b32_e32 v19, v17
	v_pk_fma_f32 v[88:89], v[82:83], v[2:3], v[76:77] op_sel:[0,0,1] op_sel_hi:[1,1,0]
	v_pk_fma_f32 v[90:91], v[82:83], v[172:173], v[76:77] op_sel:[0,1,1] op_sel_hi:[1,1,0] neg_lo:[1,0,0] neg_hi:[1,0,0]
	s_waitcnt vmcnt(0)
	v_pk_mul_f32 v[76:77], v[80:81], v[174:175] op_sel:[0,1]
	v_mov_b32_e32 v85, v87
	v_pk_fma_f32 v[82:83], v[80:81], v[174:175], v[76:77] op_sel:[0,0,1] op_sel_hi:[1,1,0] neg_lo:[0,0,1] neg_hi:[0,0,1]
	v_pk_fma_f32 v[80:81], v[80:81], v[174:175], v[76:77] op_sel:[0,0,1] op_sel_hi:[1,0,0]
	ds_read2_b64 v[76:79], v216 offset1:144
	v_mov_b32_e32 v11, v9
	v_pk_add_f32 v[16:17], v[18:19], v[84:85]
	v_mov_b32_e32 v27, v25
	v_mov_b32_e32 v83, v81
	s_waitcnt lgkmcnt(0)
	v_pk_add_f32 v[8:9], v[76:77], v[18:19]
	v_pk_add_f32 v[18:19], v[18:19], v[84:85] neg_lo:[0,1] neg_hi:[0,1]
	v_pk_fma_f32 v[16:17], v[16:17], 0.5, v[76:77] op_sel_hi:[1,0,1] neg_lo:[1,0,0] neg_hi:[1,0,0]
	v_pk_mul_f32 v[18:19], v[18:19], s[6:7] op_sel_hi:[1,0]
	v_accvgpr_write_b32 a42, v143
	v_pk_add_f32 v[24:25], v[18:19], v[16:17] op_sel:[1,0] op_sel_hi:[0,1]
	v_pk_add_f32 v[16:17], v[16:17], v[18:19] op_sel:[0,1] op_sel_hi:[1,0] neg_lo:[0,1] neg_hi:[0,1]
	v_pk_add_f32 v[18:19], v[26:27], v[82:83]
	v_add_lshl_u32 v143, v1, v94, 3
	v_pk_fma_f32 v[18:19], v[18:19], 0.5, v[10:11] op_sel_hi:[1,0,1] neg_lo:[1,0,0] neg_hi:[1,0,0]
	v_pk_add_f32 v[10:11], v[10:11], v[26:27]
	v_pk_add_f32 v[26:27], v[26:27], v[82:83] neg_lo:[0,1] neg_hi:[0,1]
	v_pk_add_f32 v[8:9], v[8:9], v[84:85]
	v_pk_fma_f32 v[76:77], v[26:27], s[6:7], v[18:19] op_sel:[0,0,1] op_sel_hi:[1,0,0]
	v_pk_fma_f32 v[18:19], v[26:27], s[6:7], v[18:19] op_sel:[0,0,1] op_sel_hi:[1,0,0] neg_lo:[1,0,0] neg_hi:[1,0,0]
	v_mul_f32_e32 v2, 0xbf5db3d7, v77
	v_mul_f32_e32 v1, 0x3f5db3d7, v18
	v_pk_add_f32 v[10:11], v[10:11], v[82:83]
	v_fmac_f32_e32 v1, 0.5, v77
	v_fmac_f32_e32 v2, 0.5, v18
	v_add_f32_e32 v26, v24, v1
	v_add_f32_e32 v27, v17, v2
	v_pk_add_f32 v[84:85], v[8:9], v[10:11]
	v_mov_b32_e32 v18, v76
	ds_read2_b64 v[80:83], v161 offset0:32 offset1:176
	s_waitcnt lgkmcnt(0)
	s_barrier
	ds_write2_b64 v143, v[84:85], v[26:27] offset1:6
	v_pk_mul_f32 v[26:27], v[18:19], 0.5 op_sel_hi:[1,0]
	v_pk_add_f32 v[8:9], v[8:9], v[10:11] neg_lo:[0,1] neg_hi:[0,1]
	v_pk_fma_f32 v[18:19], v[18:19], s[6:7], v[26:27] op_sel:[0,0,1] op_sel_hi:[1,1,0] neg_lo:[0,0,1] neg_hi:[0,0,1]
	v_mov_b32_e32 v10, v16
	v_mov_b32_e32 v11, v25
	v_pk_add_f32 v[26:27], v[10:11], v[18:19]
	ds_write2_b64 v143, v[26:27], v[8:9] offset0:12 offset1:18
	v_sub_f32_e32 v8, v24, v1
	v_sub_f32_e32 v9, v17, v2
	v_pk_add_f32 v[10:11], v[10:11], v[18:19] neg_lo:[0,1] neg_hi:[0,1]
	v_mov_b32_e32 v15, v13
	v_mov_b32_e32 v31, v29
	ds_write2_b64 v143, v[8:9], v[10:11] offset0:24 offset1:30
	v_mov_b32_e32 v7, v5
	v_pk_add_f32 v[4:5], v[14:15], v[30:31]
	v_pk_add_f32 v[10:11], v[14:15], v[30:31] neg_lo:[0,1] neg_hi:[0,1]
	v_mov_b32_e32 v23, v21
	v_mov_b32_e32 v89, v91
	v_pk_fma_f32 v[4:5], v[4:5], 0.5, v[78:79] op_sel_hi:[1,0,1] neg_lo:[1,0,0] neg_hi:[1,0,0]
	v_pk_mul_f32 v[10:11], v[10:11], s[6:7] op_sel_hi:[1,0]
	v_pk_add_f32 v[8:9], v[78:79], v[14:15]
	v_pk_add_f32 v[12:13], v[10:11], v[4:5] op_sel:[1,0] op_sel_hi:[0,1]
	v_pk_add_f32 v[4:5], v[4:5], v[10:11] op_sel:[0,1] op_sel_hi:[1,0] neg_lo:[0,1] neg_hi:[0,1]
	v_pk_add_f32 v[10:11], v[22:23], v[88:89]
	v_pk_add_f32 v[14:15], v[22:23], v[88:89] neg_lo:[0,1] neg_hi:[0,1]
	v_pk_fma_f32 v[10:11], v[10:11], 0.5, v[6:7] op_sel_hi:[1,0,1] neg_lo:[1,0,0] neg_hi:[1,0,0]
	v_pk_mul_f32 v[14:15], v[14:15], s[6:7] op_sel_hi:[1,0]
	v_mad_legacy_u16 v1, v92, 36, v93
	v_pk_add_f32 v[16:17], v[14:15], v[10:11] op_sel:[1,0] op_sel_hi:[0,1]
	v_pk_add_f32 v[10:11], v[10:11], v[14:15] op_sel:[0,1] op_sel_hi:[1,0] neg_lo:[0,1] neg_hi:[0,1]
	v_accvgpr_write_b32 a38, v147
	v_pk_add_f32 v[6:7], v[6:7], v[22:23]
	v_lshlrev_b32_e32 v147, 3, v1
	v_mul_f32_e32 v1, 0x3f5db3d7, v10
	v_mul_f32_e32 v2, 0xbf5db3d7, v17
	v_pk_add_f32 v[8:9], v[8:9], v[30:31]
	v_pk_add_f32 v[6:7], v[6:7], v[88:89]
	v_fmac_f32_e32 v1, 0.5, v17
	v_fmac_f32_e32 v2, 0.5, v10
	v_add_f32_e32 v14, v12, v1
	v_add_f32_e32 v15, v5, v2
	v_pk_add_f32 v[18:19], v[8:9], v[6:7] op_sel:[0,1] op_sel_hi:[1,0]
	v_mov_b32_e32 v10, v16
	ds_write2_b64 v147, v[18:19], v[14:15] offset1:6
	v_pk_mul_f32 v[14:15], v[10:11], 0.5 op_sel_hi:[1,0]
	v_pk_add_f32 v[6:7], v[8:9], v[6:7] op_sel:[0,1] op_sel_hi:[1,0] neg_lo:[0,1] neg_hi:[0,1]
	v_pk_fma_f32 v[10:11], v[10:11], s[6:7], v[14:15] op_sel:[0,0,1] op_sel_hi:[1,1,0] neg_lo:[0,0,1] neg_hi:[0,0,1]
	v_mov_b32_e32 v8, v4
	v_mov_b32_e32 v9, v13
	v_pk_add_f32 v[14:15], v[8:9], v[10:11]
	ds_write2_b64 v147, v[14:15], v[6:7] offset0:12 offset1:18
	v_sub_f32_e32 v4, v12, v1
	v_sub_f32_e32 v5, v5, v2
	v_pk_add_f32 v[6:7], v[8:9], v[10:11] neg_lo:[0,1] neg_hi:[0,1]
	v_mov_b32_e32 v53, v61
	v_mov_b32_e32 v59, v67
	ds_write2_b64 v147, v[4:5], v[6:7] offset0:24 offset1:30
	v_pk_add_f32 v[4:5], v[52:53], v[58:59]
	v_pk_add_f32 v[6:7], v[52:53], v[58:59] neg_lo:[0,1] neg_hi:[0,1]
	v_mov_b32_e32 v55, v65
	v_mov_b32_e32 v63, v69
	v_pk_fma_f32 v[4:5], v[4:5], 0.5, v[80:81] op_sel_hi:[1,0,1] neg_lo:[1,0,0] neg_hi:[1,0,0]
	v_pk_mul_f32 v[6:7], v[6:7], s[6:7] op_sel_hi:[1,0]
	v_mov_b32_e32 v51, v57
	v_pk_add_f32 v[8:9], v[6:7], v[4:5] op_sel:[1,0] op_sel_hi:[0,1]
	v_pk_add_f32 v[4:5], v[4:5], v[6:7] op_sel:[0,1] op_sel_hi:[1,0] neg_lo:[0,1] neg_hi:[0,1]
	v_pk_add_f32 v[6:7], v[54:55], v[62:63]
	v_pk_add_f32 v[10:11], v[54:55], v[62:63] neg_lo:[0,1] neg_hi:[0,1]
	v_pk_fma_f32 v[6:7], v[6:7], 0.5, v[50:51] op_sel_hi:[1,0,1] neg_lo:[1,0,0] neg_hi:[1,0,0]
	v_pk_mul_f32 v[10:11], v[10:11], s[6:7] op_sel_hi:[1,0]
	v_mad_legacy_u16 v1, v71, 36, v73
	v_pk_add_f32 v[12:13], v[10:11], v[6:7] op_sel:[1,0] op_sel_hi:[0,1]
	v_pk_add_f32 v[6:7], v[6:7], v[10:11] op_sel:[0,1] op_sel_hi:[1,0] neg_lo:[0,1] neg_hi:[0,1]
	v_mul_f32_e32 v2, 0xbf5db3d7, v13
	v_accvgpr_write_b32 a36, v233
	v_lshlrev_b32_e32 v233, 3, v1
	v_mul_f32_e32 v1, 0x3f5db3d7, v6
	v_fmac_f32_e32 v2, 0.5, v6
	v_mov_b32_e32 v6, v12
	v_pk_add_f32 v[10:11], v[80:81], v[52:53]
	v_pk_add_f32 v[14:15], v[50:51], v[54:55]
	v_fmac_f32_e32 v1, 0.5, v13
	v_pk_mul_f32 v[12:13], v[6:7], 0.5 op_sel_hi:[1,0]
	v_pk_add_f32 v[10:11], v[10:11], v[58:59]
	v_pk_add_f32 v[14:15], v[14:15], v[62:63]
	v_pk_fma_f32 v[6:7], v[6:7], s[6:7], v[12:13] op_sel:[0,0,1] op_sel_hi:[1,1,0] neg_lo:[0,0,1] neg_hi:[0,0,1]
	v_mov_b32_e32 v12, v4
	v_mov_b32_e32 v13, v9
	v_add_f32_e32 v17, v5, v2
	v_pk_add_f32 v[18:19], v[10:11], v[14:15] op_sel:[0,1] op_sel_hi:[1,0]
	v_pk_add_f32 v[10:11], v[10:11], v[14:15] op_sel:[0,1] op_sel_hi:[1,0] neg_lo:[0,1] neg_hi:[0,1]
	v_pk_add_f32 v[14:15], v[12:13], v[6:7]
	v_sub_f32_e32 v4, v8, v1
	v_sub_f32_e32 v5, v5, v2
	v_pk_add_f32 v[6:7], v[12:13], v[6:7] neg_lo:[0,1] neg_hi:[0,1]
	v_mov_b32_e32 v37, v41
	v_mov_b32_e32 v39, v47
	v_add_f32_e32 v16, v8, v1
	ds_write2_b64 v233, v[4:5], v[6:7] offset0:24 offset1:30
	v_mov_b32_e32 v1, v3
	v_pk_add_f32 v[2:3], v[36:37], v[38:39]
	v_pk_add_f32 v[6:7], v[36:37], v[38:39] neg_lo:[0,1] neg_hi:[0,1]
	v_mov_b32_e32 v35, v45
	v_mov_b32_e32 v43, v49
	v_pk_fma_f32 v[2:3], v[2:3], 0.5, v[82:83] op_sel_hi:[1,0,1] neg_lo:[1,0,0] neg_hi:[1,0,0]
	v_pk_mul_f32 v[6:7], v[6:7], s[6:7] op_sel_hi:[1,0]
	ds_write2_b64 v233, v[14:15], v[10:11] offset0:12 offset1:18
	v_pk_add_f32 v[8:9], v[6:7], v[2:3] op_sel:[1,0] op_sel_hi:[0,1]
	v_pk_add_f32 v[2:3], v[2:3], v[6:7] op_sel:[0,1] op_sel_hi:[1,0] neg_lo:[0,1] neg_hi:[0,1]
	v_pk_add_f32 v[6:7], v[34:35], v[42:43]
	v_pk_add_f32 v[10:11], v[34:35], v[42:43] neg_lo:[0,1] neg_hi:[0,1]
	v_pk_fma_f32 v[6:7], v[6:7], 0.5, v[0:1] op_sel_hi:[1,0,1] neg_lo:[1,0,0] neg_hi:[1,0,0]
	v_pk_mul_f32 v[10:11], v[10:11], s[6:7] op_sel_hi:[1,0]
	ds_write2_b64 v233, v[18:19], v[16:17] offset1:6
	v_pk_add_f32 v[12:13], v[10:11], v[6:7] op_sel:[1,0] op_sel_hi:[0,1]
	v_pk_add_f32 v[6:7], v[6:7], v[10:11] op_sel:[0,1] op_sel_hi:[1,0] neg_lo:[0,1] neg_hi:[0,1]
	v_pk_add_f32 v[4:5], v[82:83], v[36:37]
	v_mul_f32_e32 v16, 0x3f5db3d7, v6
	v_pk_add_f32 v[0:1], v[0:1], v[34:35]
	v_fmac_f32_e32 v16, 0.5, v13
	v_mul_f32_e32 v13, 0xbf5db3d7, v13
	v_pk_add_f32 v[4:5], v[4:5], v[38:39]
	v_pk_add_f32 v[0:1], v[0:1], v[42:43]
	v_mad_legacy_u16 v10, v33, 36, v70
	v_fmac_f32_e32 v13, 0.5, v6
	v_accvgpr_write_b32 a40, v245
	v_lshlrev_b32_e32 v245, 3, v10
	v_add_f32_e32 v10, v8, v16
	v_add_f32_e32 v11, v3, v13
	v_pk_add_f32 v[14:15], v[4:5], v[0:1] op_sel:[0,1] op_sel_hi:[1,0]
	v_mov_b32_e32 v6, v12
	ds_write2_b64 v245, v[14:15], v[10:11] offset1:6
	v_pk_mul_f32 v[10:11], v[6:7], 0.5 op_sel_hi:[1,0]
	v_pk_add_f32 v[0:1], v[4:5], v[0:1] op_sel:[0,1] op_sel_hi:[1,0] neg_lo:[0,1] neg_hi:[0,1]
	v_pk_fma_f32 v[6:7], v[6:7], s[6:7], v[10:11] op_sel:[0,0,1] op_sel_hi:[1,1,0] neg_lo:[0,0,1] neg_hi:[0,0,1]
	v_mov_b32_e32 v4, v2
	v_mov_b32_e32 v5, v9
	v_pk_add_f32 v[10:11], v[4:5], v[6:7]
	ds_write2_b64 v245, v[10:11], v[0:1] offset0:12 offset1:18
	v_sub_f32_e32 v0, v8, v16
	v_sub_f32_e32 v1, v3, v13
	v_pk_add_f32 v[2:3], v[4:5], v[6:7] neg_lo:[0,1] neg_hi:[0,1]
	ds_write2_b64 v245, v[0:1], v[2:3] offset0:24 offset1:30
	v_mul_u32_u24_sdwa v0, v32, s12 dst_sel:DWORD dst_unused:UNUSED_PAD src0_sel:WORD_0 src1_sel:DWORD
	v_lshrrev_b32_e32 v75, 21, v0
	v_mul_lo_u16_e32 v0, 36, v75
	v_sub_u16_e32 v106, v32, v0
	v_mul_u32_u24_sdwa v0, v74, s12 dst_sel:DWORD dst_unused:UNUSED_PAD src0_sel:WORD_0 src1_sel:DWORD
	v_lshrrev_b32_e32 v7, 21, v0
	v_mul_lo_u16_e32 v0, 36, v7
	v_sub_u16_e32 v73, v74, v0
	v_mul_lo_u16_e32 v0, 40, v73
	v_mov_b32_e32 v1, v217
	v_lshl_add_u64 v[0:1], s[10:11], 0, v[0:1]
	s_waitcnt lgkmcnt(0)
	s_barrier
	global_load_dwordx4 v[132:135], v[0:1], off offset:240
	v_mul_lo_u16_e32 v2, 40, v106
	v_mov_b32_e32 v3, v217
	v_lshl_add_u64 v[2:3], s[10:11], 0, v[2:3]
	global_load_dwordx4 v[136:139], v[2:3], off offset:240
	global_load_dwordx4 v[128:131], v[0:1], off offset:256
	;; [unrolled: 1-line block ×3, first 2 shown]
	global_load_dwordx2 v[186:187], v[0:1], off offset:272
	global_load_dwordx2 v[184:185], v[2:3], off offset:272
	v_mov_b32_e32 v0, 57
	v_mul_lo_u16_sdwa v0, v120, v0 dst_sel:DWORD dst_unused:UNUSED_PAD src0_sel:BYTE_0 src1_sel:DWORD
	v_lshrrev_b16_e32 v44, 11, v0
	v_mul_u32_u24_sdwa v0, v72, s12 dst_sel:DWORD dst_unused:UNUSED_PAD src0_sel:WORD_0 src1_sel:DWORD
	v_lshrrev_b32_e32 v45, 21, v0
	v_mul_lo_u16_e32 v0, 36, v45
	v_sub_u16_e32 v46, v72, v0
	v_mul_lo_u16_e32 v4, 36, v44
	v_mul_lo_u16_e32 v0, 40, v46
	v_mov_b32_e32 v1, v217
	v_lshl_add_u64 v[2:3], s[10:11], 0, v[0:1]
	v_sub_u16_e32 v0, v120, v4
	global_load_dwordx4 v[112:115], v[2:3], off offset:240
	v_and_b32_e32 v47, 0xff, v0
	v_mad_u64_u32 v[4:5], s[22:23], v47, 40, s[10:11]
	global_load_dwordx4 v[116:119], v[4:5], off offset:240
	ds_read2_b64 v[58:61], v122 offset0:96 offset1:240
	ds_read2_b64 v[62:65], v201 offset0:32 offset1:176
	;; [unrolled: 1-line block ×3, first 2 shown]
	global_load_dwordx2 v[206:207], v[4:5], off offset:272
	s_movk_i32 s12, 0xd8
	v_mov_b32_e32 v51, v107
	s_waitcnt vmcnt(8) lgkmcnt(2)
	v_pk_mul_f32 v[0:1], v[60:61], v[132:133] op_sel_hi:[1,0]
	v_mov_b32_e32 v6, v133
	v_pk_fma_f32 v[56:57], v[60:61], v[6:7], v[0:1] op_sel:[0,0,1] op_sel_hi:[1,1,0]
	v_pk_fma_f32 v[0:1], v[60:61], v[132:133], v[0:1] op_sel:[0,1,1] op_sel_hi:[1,1,0] neg_lo:[1,0,0] neg_hi:[1,0,0]
	s_waitcnt vmcnt(7)
	v_pk_mul_f32 v[8:9], v[58:59], v[136:137] op_sel_hi:[1,0]
	v_mov_b32_e32 v0, v137
	v_pk_fma_f32 v[86:87], v[58:59], v[0:1], v[8:9] op_sel:[0,0,1] op_sel_hi:[1,1,0]
	v_mov_b32_e32 v0, v135
	v_pk_fma_f32 v[92:93], v[58:59], v[136:137], v[8:9] op_sel:[0,1,1] op_sel_hi:[1,1,0] neg_lo:[1,0,0] neg_hi:[1,0,0]
	s_waitcnt lgkmcnt(1)
	v_pk_mul_f32 v[8:9], v[64:65], v[0:1] op_sel_hi:[1,0]
	v_mov_b32_e32 v0, v139
	v_pk_fma_f32 v[60:61], v[64:65], v[134:135], v[8:9] op_sel:[0,0,1] op_sel_hi:[1,1,0] neg_lo:[0,0,1] neg_hi:[0,0,1]
	v_pk_fma_f32 v[76:77], v[64:65], v[134:135], v[8:9] op_sel:[0,0,1] op_sel_hi:[1,0,0]
	ds_read2_b64 v[64:67], v107 offset0:96 offset1:240
	v_pk_mul_f32 v[8:9], v[62:63], v[0:1] op_sel_hi:[1,0]
	s_waitcnt vmcnt(6)
	v_mov_b32_e32 v0, v129
	v_pk_fma_f32 v[88:89], v[62:63], v[138:139], v[8:9] op_sel:[0,0,1] op_sel_hi:[1,1,0] neg_lo:[0,0,1] neg_hi:[0,0,1]
	v_pk_fma_f32 v[96:97], v[62:63], v[138:139], v[8:9] op_sel:[0,0,1] op_sel_hi:[1,0,0]
	s_waitcnt lgkmcnt(0)
	v_pk_mul_f32 v[8:9], v[66:67], v[128:129] op_sel_hi:[1,0]
	v_accvgpr_write_b32 a54, v139
	v_pk_fma_f32 v[58:59], v[66:67], v[0:1], v[8:9] op_sel:[0,0,1] op_sel_hi:[1,1,0]
	v_pk_fma_f32 v[80:81], v[66:67], v[128:129], v[8:9] op_sel:[0,1,1] op_sel_hi:[1,1,0] neg_lo:[1,0,0] neg_hi:[1,0,0]
	ds_read2_b64 v[66:69], v221 offset0:32 offset1:176
	s_waitcnt vmcnt(5)
	v_pk_mul_f32 v[8:9], v[64:65], v[124:125] op_sel_hi:[1,0]
	v_mov_b32_e32 v0, v125
	v_pk_fma_f32 v[90:91], v[64:65], v[0:1], v[8:9] op_sel:[0,0,1] op_sel_hi:[1,1,0]
	v_mov_b32_e32 v0, v131
	v_pk_fma_f32 v[100:101], v[64:65], v[124:125], v[8:9] op_sel:[0,1,1] op_sel_hi:[1,1,0] neg_lo:[1,0,0] neg_hi:[1,0,0]
	s_waitcnt lgkmcnt(0)
	v_pk_mul_f32 v[8:9], v[68:69], v[0:1] op_sel_hi:[1,0]
	v_mov_b32_e32 v0, v127
	v_pk_fma_f32 v[62:63], v[68:69], v[130:131], v[8:9] op_sel:[0,0,1] op_sel_hi:[1,1,0] neg_lo:[0,0,1] neg_hi:[0,0,1]
	v_pk_fma_f32 v[82:83], v[68:69], v[130:131], v[8:9] op_sel:[0,0,1] op_sel_hi:[1,0,0]
	ds_read2_b64 v[68:71], v220 offset0:96 offset1:240
	v_pk_mul_f32 v[8:9], v[66:67], v[0:1] op_sel_hi:[1,0]
	s_waitcnt vmcnt(4)
	v_mov_b32_e32 v0, v187
	v_pk_fma_f32 v[94:95], v[66:67], v[126:127], v[8:9] op_sel:[0,0,1] op_sel_hi:[1,1,0] neg_lo:[0,0,1] neg_hi:[0,0,1]
	v_pk_fma_f32 v[102:103], v[66:67], v[126:127], v[8:9] op_sel:[0,0,1] op_sel_hi:[1,0,0]
	global_load_dwordx4 v[64:67], v[4:5], off offset:256
	s_waitcnt lgkmcnt(0)
	v_pk_mul_f32 v[8:9], v[70:71], v[186:187] op_sel_hi:[1,0]
	s_waitcnt vmcnt(2)
	v_pk_mul_f32 v[4:5], v[108:109], v[116:117] op_sel:[0,1]
	v_pk_fma_f32 v[78:79], v[70:71], v[0:1], v[8:9] op_sel:[0,0,1] op_sel_hi:[1,1,0]
	v_pk_fma_f32 v[84:85], v[70:71], v[186:187], v[8:9] op_sel:[0,1,1] op_sel_hi:[1,1,0] neg_lo:[1,0,0] neg_hi:[1,0,0]
	v_pk_mul_f32 v[8:9], v[68:69], v[184:185] op_sel_hi:[1,0]
	v_mov_b32_e32 v0, v185
	v_pk_fma_f32 v[98:99], v[68:69], v[0:1], v[8:9] op_sel:[0,0,1] op_sel_hi:[1,1,0]
	v_pk_fma_f32 v[104:105], v[68:69], v[184:185], v[8:9] op_sel:[0,1,1] op_sel_hi:[1,1,0] neg_lo:[1,0,0] neg_hi:[1,0,0]
	ds_read2_b64 v[68:71], v188 offset1:144
	v_pk_mul_f32 v[8:9], v[110:111], v[112:113] op_sel_hi:[1,0]
	v_mov_b32_e32 v0, v113
	v_pk_fma_f32 v[10:11], v[110:111], v[0:1], v[8:9] op_sel:[0,0,1] op_sel_hi:[1,1,0]
	v_mov_b32_e32 v0, v115
	s_waitcnt lgkmcnt(0)
	v_pk_mul_f32 v[14:15], v[70:71], v[0:1] op_sel_hi:[1,0]
	v_mov_b32_e32 v0, v119
	v_pk_mul_f32 v[18:19], v[68:69], v[0:1] op_sel_hi:[1,0]
	v_pk_fma_f32 v[16:17], v[70:71], v[114:115], v[14:15] op_sel:[0,0,1] op_sel_hi:[1,1,0] neg_lo:[0,0,1] neg_hi:[0,0,1]
	v_pk_fma_f32 v[14:15], v[70:71], v[114:115], v[14:15] op_sel:[0,0,1] op_sel_hi:[1,0,0]
	v_pk_fma_f32 v[20:21], v[68:69], v[118:119], v[18:19] op_sel:[0,0,1] op_sel_hi:[1,1,0] neg_lo:[0,0,1] neg_hi:[0,0,1]
	v_pk_fma_f32 v[18:19], v[68:69], v[118:119], v[18:19] op_sel:[0,0,1] op_sel_hi:[1,0,0]
	global_load_dwordx2 v[210:211], v[2:3], off offset:272
	global_load_dwordx4 v[68:71], v[2:3], off offset:256
	v_pk_fma_f32 v[8:9], v[110:111], v[112:113], v[8:9] op_sel:[0,1,1] op_sel_hi:[1,1,0] neg_lo:[1,0,0] neg_hi:[1,0,0]
	v_pk_fma_f32 v[12:13], v[108:109], v[116:117], v[4:5] op_sel:[0,0,1] op_sel_hi:[1,1,0] neg_lo:[0,0,1] neg_hi:[0,0,1]
	v_pk_fma_f32 v[4:5], v[108:109], v[116:117], v[4:5] op_sel:[0,0,1] op_sel_hi:[1,0,0]
	ds_read2_b64 v[108:111], v123 offset0:64 offset1:208
	v_mov_b32_e32 v21, v19
	v_mov_b32_e32 v13, v5
	ds_read2_b64 v[196:199], v161 offset0:32 offset1:176
	v_mov_b32_e32 v17, v15
	v_mov_b32_e32 v11, v9
	v_accvgpr_write_b32 a68, v115
	v_mov_b32_e32 v89, v97
	v_mov_b32_e32 v95, v103
	;; [unrolled: 1-line block ×5, first 2 shown]
	v_accvgpr_write_b32 a62, v119
	v_mov_b32_e32 v61, v77
	v_mov_b32_e32 v63, v83
	;; [unrolled: 1-line block ×5, first 2 shown]
	v_accvgpr_write_b32 a50, v127
	v_accvgpr_write_b32 a60, v135
	v_add_u32_e32 v135, 0x1d00, v216
	v_accvgpr_write_b32 a52, v131
	s_waitcnt vmcnt(2) lgkmcnt(1)
	v_pk_mul_f32 v[24:25], v[108:109], v[64:65] op_sel:[0,1]
	s_nop 0
	v_pk_fma_f32 v[26:27], v[108:109], v[64:65], v[24:25] op_sel:[0,0,1] op_sel_hi:[1,1,0] neg_lo:[0,0,1] neg_hi:[0,0,1]
	v_pk_fma_f32 v[24:25], v[108:109], v[64:65], v[24:25] op_sel:[0,0,1] op_sel_hi:[1,0,0]
	v_accvgpr_write_b32 a64, v67
	v_mov_b32_e32 v27, v25
	s_waitcnt vmcnt(0)
	v_pk_mul_f32 v[2:3], v[110:111], v[68:69] op_sel_hi:[1,0]
	v_mov_b32_e32 v0, v69
	v_pk_fma_f32 v[22:23], v[110:111], v[0:1], v[2:3] op_sel:[0,0,1] op_sel_hi:[1,1,0]
	v_pk_fma_f32 v[2:3], v[110:111], v[68:69], v[2:3] op_sel:[0,1,1] op_sel_hi:[1,1,0] neg_lo:[1,0,0] neg_hi:[1,0,0]
	ds_read2_b64 v[108:111], v189 offset1:144
	v_mov_b32_e32 v0, v71
	v_mov_b32_e32 v23, v3
	v_accvgpr_write_b32 a66, v71
	s_waitcnt lgkmcnt(0)
	v_pk_mul_f32 v[28:29], v[110:111], v[0:1] op_sel_hi:[1,0]
	v_mov_b32_e32 v0, v67
	v_pk_mul_f32 v[32:33], v[108:109], v[0:1] op_sel_hi:[1,0]
	v_pk_fma_f32 v[30:31], v[110:111], v[70:71], v[28:29] op_sel:[0,0,1] op_sel_hi:[1,1,0] neg_lo:[0,0,1] neg_hi:[0,0,1]
	v_pk_fma_f32 v[28:29], v[110:111], v[70:71], v[28:29] op_sel:[0,0,1] op_sel_hi:[1,0,0]
	v_pk_fma_f32 v[34:35], v[108:109], v[66:67], v[32:33] op_sel:[0,0,1] op_sel_hi:[1,1,0] neg_lo:[0,0,1] neg_hi:[0,0,1]
	v_pk_fma_f32 v[32:33], v[108:109], v[66:67], v[32:33] op_sel:[0,0,1] op_sel_hi:[1,0,0]
	ds_read2_b64 v[108:111], v200 offset0:64 offset1:208
	v_mov_b32_e32 v0, v211
	v_mov_b32_e32 v35, v33
	v_pk_add_f32 v[18:19], v[20:21], v[34:35]
	v_mov_b32_e32 v31, v29
	s_waitcnt lgkmcnt(0)
	v_pk_mul_f32 v[36:37], v[110:111], v[210:211] op_sel_hi:[1,0]
	v_pk_mul_f32 v[40:41], v[108:109], v[206:207] op_sel:[0,1]
	v_pk_fma_f32 v[38:39], v[110:111], v[0:1], v[36:37] op_sel:[0,0,1] op_sel_hi:[1,1,0]
	v_pk_fma_f32 v[36:37], v[110:111], v[210:211], v[36:37] op_sel:[0,1,1] op_sel_hi:[1,1,0] neg_lo:[1,0,0] neg_hi:[1,0,0]
	v_pk_fma_f32 v[42:43], v[108:109], v[206:207], v[40:41] op_sel:[0,0,1] op_sel_hi:[1,1,0] neg_lo:[0,0,1] neg_hi:[0,0,1]
	v_pk_fma_f32 v[40:41], v[108:109], v[206:207], v[40:41] op_sel:[0,0,1] op_sel_hi:[1,0,0]
	ds_read2_b64 v[108:111], v216 offset1:144
	v_mov_b32_e32 v43, v41
	v_mul_u32_u24_e32 v0, 0xd8, v44
	v_add_lshl_u32 v139, v0, v47, 3
	s_waitcnt lgkmcnt(0)
	v_pk_add_f32 v[4:5], v[108:109], v[20:21]
	v_pk_add_f32 v[20:21], v[20:21], v[34:35] neg_lo:[0,1] neg_hi:[0,1]
	v_pk_fma_f32 v[18:19], v[18:19], 0.5, v[108:109] op_sel_hi:[1,0,1] neg_lo:[1,0,0] neg_hi:[1,0,0]
	v_pk_mul_f32 v[20:21], v[20:21], s[6:7] op_sel_hi:[1,0]
	v_pk_add_f32 v[4:5], v[4:5], v[34:35]
	v_pk_add_f32 v[24:25], v[20:21], v[18:19] op_sel:[1,0] op_sel_hi:[0,1]
	v_pk_add_f32 v[18:19], v[18:19], v[20:21] op_sel:[0,1] op_sel_hi:[1,0] neg_lo:[0,1] neg_hi:[0,1]
	v_pk_add_f32 v[20:21], v[26:27], v[42:43]
	s_barrier
	v_pk_fma_f32 v[20:21], v[20:21], 0.5, v[12:13] op_sel_hi:[1,0,1] neg_lo:[1,0,0] neg_hi:[1,0,0]
	v_pk_add_f32 v[12:13], v[12:13], v[26:27]
	v_pk_add_f32 v[26:27], v[26:27], v[42:43] neg_lo:[0,1] neg_hi:[0,1]
	v_pk_add_f32 v[12:13], v[12:13], v[42:43]
	v_pk_fma_f32 v[32:33], v[26:27], s[6:7], v[20:21] op_sel:[0,0,1] op_sel_hi:[1,0,0]
	v_pk_fma_f32 v[20:21], v[26:27], s[6:7], v[20:21] op_sel:[0,0,1] op_sel_hi:[1,0,0] neg_lo:[1,0,0] neg_hi:[1,0,0]
	v_mul_f32_e32 v2, 0xbf5db3d7, v33
	v_mul_f32_e32 v0, 0x3f5db3d7, v20
	v_fmac_f32_e32 v0, 0.5, v33
	v_fmac_f32_e32 v2, 0.5, v20
	v_add_f32_e32 v26, v24, v0
	v_add_f32_e32 v27, v19, v2
	v_pk_add_f32 v[34:35], v[4:5], v[12:13]
	v_mov_b32_e32 v20, v32
	ds_write2_b64 v139, v[34:35], v[26:27] offset1:36
	v_pk_mul_f32 v[26:27], v[20:21], 0.5 op_sel_hi:[1,0]
	v_pk_add_f32 v[4:5], v[4:5], v[12:13] neg_lo:[0,1] neg_hi:[0,1]
	v_pk_fma_f32 v[20:21], v[20:21], s[6:7], v[26:27] op_sel:[0,0,1] op_sel_hi:[1,1,0] neg_lo:[0,0,1] neg_hi:[0,0,1]
	v_mov_b32_e32 v12, v18
	v_mov_b32_e32 v13, v25
	v_pk_add_f32 v[26:27], v[12:13], v[20:21]
	ds_write2_b64 v139, v[26:27], v[4:5] offset0:72 offset1:108
	v_sub_f32_e32 v5, v19, v2
	v_pk_add_f32 v[2:3], v[16:17], v[30:31]
	v_pk_add_f32 v[8:9], v[16:17], v[30:31] neg_lo:[0,1] neg_hi:[0,1]
	v_sub_f32_e32 v4, v24, v0
	v_pk_add_f32 v[12:13], v[12:13], v[20:21] neg_lo:[0,1] neg_hi:[0,1]
	v_mov_b32_e32 v39, v37
	v_pk_fma_f32 v[2:3], v[2:3], 0.5, v[110:111] op_sel_hi:[1,0,1] neg_lo:[1,0,0] neg_hi:[1,0,0]
	v_pk_mul_f32 v[8:9], v[8:9], s[6:7] op_sel_hi:[1,0]
	ds_write2_b64 v139, v[4:5], v[12:13] offset0:144 offset1:180
	v_pk_add_f32 v[12:13], v[8:9], v[2:3] op_sel:[1,0] op_sel_hi:[0,1]
	v_pk_add_f32 v[2:3], v[2:3], v[8:9] op_sel:[0,1] op_sel_hi:[1,0] neg_lo:[0,1] neg_hi:[0,1]
	v_pk_add_f32 v[8:9], v[22:23], v[38:39]
	v_pk_add_f32 v[14:15], v[22:23], v[38:39] neg_lo:[0,1] neg_hi:[0,1]
	v_pk_fma_f32 v[8:9], v[8:9], 0.5, v[10:11] op_sel_hi:[1,0,1] neg_lo:[1,0,0] neg_hi:[1,0,0]
	v_pk_mul_f32 v[14:15], v[14:15], s[6:7] op_sel_hi:[1,0]
	v_pk_add_f32 v[4:5], v[110:111], v[16:17]
	v_pk_add_f32 v[16:17], v[14:15], v[8:9] op_sel:[1,0] op_sel_hi:[0,1]
	v_pk_add_f32 v[8:9], v[8:9], v[14:15] op_sel:[0,1] op_sel_hi:[1,0] neg_lo:[0,1] neg_hi:[0,1]
	v_mad_legacy_u16 v0, v45, s12, v46
	v_pk_add_f32 v[10:11], v[10:11], v[22:23]
	v_lshlrev_b32_e32 v115, 3, v0
	v_mul_f32_e32 v0, 0x3f5db3d7, v8
	v_mul_f32_e32 v6, 0xbf5db3d7, v17
	v_pk_add_f32 v[4:5], v[4:5], v[30:31]
	v_pk_add_f32 v[10:11], v[10:11], v[38:39]
	v_fmac_f32_e32 v0, 0.5, v17
	v_fmac_f32_e32 v6, 0.5, v8
	v_add_f32_e32 v14, v12, v0
	v_add_f32_e32 v15, v3, v6
	v_pk_add_f32 v[18:19], v[4:5], v[10:11] op_sel:[0,1] op_sel_hi:[1,0]
	v_mov_b32_e32 v8, v16
	ds_write2_b64 v115, v[18:19], v[14:15] offset1:36
	v_pk_mul_f32 v[14:15], v[8:9], 0.5 op_sel_hi:[1,0]
	v_pk_add_f32 v[4:5], v[4:5], v[10:11] op_sel:[0,1] op_sel_hi:[1,0] neg_lo:[0,1] neg_hi:[0,1]
	v_pk_fma_f32 v[8:9], v[8:9], s[6:7], v[14:15] op_sel:[0,0,1] op_sel_hi:[1,1,0] neg_lo:[0,0,1] neg_hi:[0,0,1]
	v_mov_b32_e32 v10, v2
	v_mov_b32_e32 v11, v13
	v_pk_add_f32 v[14:15], v[10:11], v[8:9]
	ds_write2_b64 v115, v[14:15], v[4:5] offset0:72 offset1:108
	v_sub_f32_e32 v2, v12, v0
	v_sub_f32_e32 v3, v3, v6
	v_pk_add_f32 v[4:5], v[10:11], v[8:9] neg_lo:[0,1] neg_hi:[0,1]
	ds_write2_b64 v115, v[2:3], v[4:5] offset0:144 offset1:180
	v_pk_add_f32 v[2:3], v[88:89], v[94:95]
	v_pk_add_f32 v[4:5], v[88:89], v[94:95] neg_lo:[0,1] neg_hi:[0,1]
	v_pk_fma_f32 v[2:3], v[2:3], 0.5, v[196:197] op_sel_hi:[1,0,1] neg_lo:[1,0,0] neg_hi:[1,0,0]
	v_pk_mul_f32 v[4:5], v[4:5], s[6:7] op_sel_hi:[1,0]
	v_pk_add_f32 v[10:11], v[90:91], v[98:99] neg_lo:[0,1] neg_hi:[0,1]
	v_pk_add_f32 v[8:9], v[4:5], v[2:3] op_sel:[1,0] op_sel_hi:[0,1]
	v_pk_add_f32 v[2:3], v[2:3], v[4:5] op_sel:[0,1] op_sel_hi:[1,0] neg_lo:[0,1] neg_hi:[0,1]
	v_pk_add_f32 v[4:5], v[90:91], v[98:99]
	v_pk_mul_f32 v[10:11], v[10:11], s[6:7] op_sel_hi:[1,0]
	v_pk_fma_f32 v[4:5], v[4:5], 0.5, v[86:87] op_sel_hi:[1,0,1] neg_lo:[1,0,0] neg_hi:[1,0,0]
	v_mad_legacy_u16 v0, v75, s12, v106
	v_pk_add_f32 v[12:13], v[10:11], v[4:5] op_sel:[1,0] op_sel_hi:[0,1]
	v_pk_add_f32 v[4:5], v[4:5], v[10:11] op_sel:[0,1] op_sel_hi:[1,0] neg_lo:[0,1] neg_hi:[0,1]
	v_mul_f32_e32 v6, 0xbf5db3d7, v13
	v_lshlrev_b32_e32 v119, 3, v0
	v_mul_f32_e32 v0, 0x3f5db3d7, v4
	v_fmac_f32_e32 v6, 0.5, v4
	v_mov_b32_e32 v4, v12
	v_pk_add_f32 v[10:11], v[196:197], v[88:89]
	v_pk_add_f32 v[14:15], v[86:87], v[90:91]
	v_fmac_f32_e32 v0, 0.5, v13
	v_pk_mul_f32 v[12:13], v[4:5], 0.5 op_sel_hi:[1,0]
	v_pk_add_f32 v[10:11], v[10:11], v[94:95]
	v_pk_add_f32 v[14:15], v[14:15], v[98:99]
	v_pk_fma_f32 v[4:5], v[4:5], s[6:7], v[12:13] op_sel:[0,0,1] op_sel_hi:[1,1,0] neg_lo:[0,0,1] neg_hi:[0,0,1]
	v_mov_b32_e32 v12, v2
	v_mov_b32_e32 v13, v9
	v_add_f32_e32 v17, v3, v6
	v_pk_add_f32 v[18:19], v[10:11], v[14:15] op_sel:[0,1] op_sel_hi:[1,0]
	v_pk_add_f32 v[10:11], v[10:11], v[14:15] op_sel:[0,1] op_sel_hi:[1,0] neg_lo:[0,1] neg_hi:[0,1]
	v_pk_add_f32 v[14:15], v[12:13], v[4:5]
	v_sub_f32_e32 v2, v8, v0
	v_sub_f32_e32 v3, v3, v6
	v_pk_add_f32 v[4:5], v[12:13], v[4:5] neg_lo:[0,1] neg_hi:[0,1]
	v_add_f32_e32 v16, v8, v0
	ds_write2_b64 v119, v[2:3], v[4:5] offset0:144 offset1:180
	v_pk_add_f32 v[0:1], v[60:61], v[62:63]
	v_pk_add_f32 v[4:5], v[60:61], v[62:63] neg_lo:[0,1] neg_hi:[0,1]
	v_pk_fma_f32 v[0:1], v[0:1], 0.5, v[198:199] op_sel_hi:[1,0,1] neg_lo:[1,0,0] neg_hi:[1,0,0]
	v_pk_mul_f32 v[4:5], v[4:5], s[6:7] op_sel_hi:[1,0]
	ds_write2_b64 v119, v[14:15], v[10:11] offset0:72 offset1:108
	v_pk_add_f32 v[8:9], v[4:5], v[0:1] op_sel:[1,0] op_sel_hi:[0,1]
	v_pk_add_f32 v[0:1], v[0:1], v[4:5] op_sel:[0,1] op_sel_hi:[1,0] neg_lo:[0,1] neg_hi:[0,1]
	v_pk_add_f32 v[4:5], v[58:59], v[78:79]
	v_pk_add_f32 v[10:11], v[58:59], v[78:79] neg_lo:[0,1] neg_hi:[0,1]
	v_pk_fma_f32 v[4:5], v[4:5], 0.5, v[56:57] op_sel_hi:[1,0,1] neg_lo:[1,0,0] neg_hi:[1,0,0]
	v_pk_mul_f32 v[10:11], v[10:11], s[6:7] op_sel_hi:[1,0]
	ds_write2_b64 v119, v[18:19], v[16:17] offset1:36
	v_pk_add_f32 v[12:13], v[10:11], v[4:5] op_sel:[1,0] op_sel_hi:[0,1]
	v_pk_add_f32 v[4:5], v[4:5], v[10:11] op_sel:[0,1] op_sel_hi:[1,0] neg_lo:[0,1] neg_hi:[0,1]
	v_pk_add_f32 v[2:3], v[198:199], v[60:61]
	v_mul_f32_e32 v16, 0x3f5db3d7, v4
	v_pk_add_f32 v[10:11], v[56:57], v[58:59]
	v_fmac_f32_e32 v16, 0.5, v13
	v_mul_f32_e32 v13, 0xbf5db3d7, v13
	v_pk_add_f32 v[2:3], v[2:3], v[62:63]
	v_pk_add_f32 v[10:11], v[10:11], v[78:79]
	v_mad_legacy_u16 v6, v7, s12, v73
	v_fmac_f32_e32 v13, 0.5, v4
	v_lshlrev_b32_e32 v127, 3, v6
	v_add_f32_e32 v6, v8, v16
	v_add_f32_e32 v7, v1, v13
	v_pk_add_f32 v[14:15], v[2:3], v[10:11] op_sel:[0,1] op_sel_hi:[1,0]
	v_mov_b32_e32 v4, v12
	ds_write2_b64 v127, v[14:15], v[6:7] offset1:36
	v_pk_mul_f32 v[6:7], v[4:5], 0.5 op_sel_hi:[1,0]
	v_pk_add_f32 v[2:3], v[2:3], v[10:11] op_sel:[0,1] op_sel_hi:[1,0] neg_lo:[0,1] neg_hi:[0,1]
	v_pk_fma_f32 v[4:5], v[4:5], s[6:7], v[6:7] op_sel:[0,0,1] op_sel_hi:[1,1,0] neg_lo:[0,0,1] neg_hi:[0,0,1]
	v_mov_b32_e32 v6, v0
	v_mov_b32_e32 v7, v9
	v_pk_add_f32 v[10:11], v[6:7], v[4:5]
	ds_write2_b64 v127, v[10:11], v[2:3] offset0:72 offset1:108
	v_sub_f32_e32 v0, v8, v16
	v_sub_f32_e32 v1, v1, v13
	v_pk_add_f32 v[2:3], v[6:7], v[4:5] neg_lo:[0,1] neg_hi:[0,1]
	ds_write2_b64 v127, v[0:1], v[2:3] offset0:144 offset1:180
	v_add_u16_e32 v2, 0x240, v120
	v_lshrrev_b16_e32 v0, 3, v2
	v_mul_u32_u24_e32 v0, 0x12f7, v0
	v_lshrrev_b32_e32 v48, 17, v0
	v_add_u16_e32 v0, 0x2d0, v120
	v_lshrrev_b16_e32 v1, 3, v0
	v_mul_u32_u24_e32 v1, 0x12f7, v1
	v_lshrrev_b32_e32 v1, 17, v1
	v_mul_lo_u16_e32 v1, 0xd8, v1
	v_sub_u16_e32 v49, v0, v1
	v_mul_lo_u16_e32 v0, 24, v49
	v_mov_b32_e32 v1, v217
	v_lshl_add_u64 v[0:1], s[10:11], 0, v[0:1]
	v_mul_lo_u16_e32 v3, 0xd8, v48
	s_waitcnt lgkmcnt(0)
	s_barrier
	global_load_dwordx4 v[56:59], v[0:1], off offset:1680
	v_sub_u16_e32 v50, v2, v3
	v_mul_lo_u16_e32 v2, 24, v50
	v_mov_b32_e32 v3, v217
	v_lshl_add_u64 v[2:3], s[10:11], 0, v[2:3]
	global_load_dwordx4 v[60:63], v[2:3], off offset:1680
	global_load_dwordx2 v[196:197], v[0:1], off offset:1696
	global_load_dwordx2 v[198:199], v[2:3], off offset:1696
	ds_read2_b64 v[0:3], v189 offset1:144
	ds_read2_b64 v[80:83], v201 offset0:32 offset1:176
	ds_read2_b64 v[84:87], v220 offset0:96 offset1:240
	s_movk_i32 s12, 0x48
	v_cmp_gt_u16_e32 vcc, s12, v120
	v_mov_b32_e32 v71, v122
	s_movk_i32 s12, 0x47
	s_waitcnt vmcnt(3)
	v_mov_b32_e32 v6, v59
	s_waitcnt lgkmcnt(2)
	v_pk_mul_f32 v[4:5], v[2:3], v[6:7] op_sel_hi:[1,0]
	v_accvgpr_write_b32 a56, v59
	v_pk_fma_f32 v[76:77], v[2:3], v[58:59], v[4:5] op_sel:[0,0,1] op_sel_hi:[1,1,0] neg_lo:[0,0,1] neg_hi:[0,0,1]
	v_pk_fma_f32 v[88:89], v[2:3], v[58:59], v[4:5] op_sel:[0,0,1] op_sel_hi:[1,0,0]
	s_waitcnt vmcnt(2)
	v_mov_b32_e32 v2, v63
	v_pk_mul_f32 v[4:5], v[0:1], v[2:3] op_sel_hi:[1,0]
	v_accvgpr_write_b32 a58, v63
	v_pk_fma_f32 v[2:3], v[0:1], v[62:63], v[4:5] op_sel:[0,0,1] op_sel_hi:[1,1,0] neg_lo:[0,0,1] neg_hi:[0,0,1]
	v_pk_fma_f32 v[92:93], v[0:1], v[62:63], v[4:5] op_sel:[0,0,1] op_sel_hi:[1,0,0]
	s_waitcnt lgkmcnt(1)
	v_pk_mul_f32 v[0:1], v[82:83], v[56:57] op_sel_hi:[1,0]
	v_mov_b32_e32 v63, v236
	v_pk_fma_f32 v[78:79], v[82:83], v[56:57], v[0:1] op_sel:[0,1,1] op_sel_hi:[1,1,0]
	v_pk_fma_f32 v[90:91], v[82:83], v[56:57], v[0:1] op_sel:[0,1,1] op_sel_hi:[1,1,0] neg_lo:[1,0,0] neg_hi:[1,0,0]
	v_pk_mul_f32 v[0:1], v[80:81], v[60:61] op_sel_hi:[1,0]
	v_mov_b32_e32 v77, v89
	v_pk_fma_f32 v[98:99], v[80:81], v[60:61], v[0:1] op_sel:[0,1,1] op_sel_hi:[1,1,0]
	v_pk_fma_f32 v[100:101], v[80:81], v[60:61], v[0:1] op_sel:[0,1,1] op_sel_hi:[1,1,0] neg_lo:[1,0,0] neg_hi:[1,0,0]
	s_waitcnt vmcnt(1) lgkmcnt(0)
	v_pk_mul_f32 v[0:1], v[86:87], v[196:197] op_sel_hi:[1,0]
	v_mov_b32_e32 v99, v101
	v_pk_fma_f32 v[94:95], v[86:87], v[196:197], v[0:1] op_sel:[0,1,1] op_sel_hi:[1,1,0]
	v_pk_fma_f32 v[96:97], v[86:87], v[196:197], v[0:1] op_sel:[0,1,1] op_sel_hi:[1,1,0] neg_lo:[1,0,0] neg_hi:[1,0,0]
	s_waitcnt vmcnt(0)
	v_pk_mul_f32 v[0:1], v[84:85], v[198:199] op_sel_hi:[1,0]
	v_mov_b32_e32 v79, v91
	v_pk_fma_f32 v[102:103], v[84:85], v[198:199], v[0:1] op_sel:[0,1,1] op_sel_hi:[1,1,0]
	v_pk_fma_f32 v[4:5], v[84:85], v[198:199], v[0:1] op_sel:[0,1,1] op_sel_hi:[1,1,0] neg_lo:[1,0,0] neg_hi:[1,0,0]
	v_lshrrev_b16_e32 v0, 3, v74
	v_mul_u32_u24_e32 v0, 0x12f7, v0
	v_lshrrev_b32_e32 v0, 17, v0
	v_mul_lo_u16_e32 v0, 0xd8, v0
	v_sub_u16_e32 v3, v74, v0
	v_mul_lo_u16_e32 v0, 24, v3
	v_mov_b32_e32 v1, v217
	v_lshl_add_u64 v[0:1], s[10:11], 0, v[0:1]
	global_load_dwordx2 v[208:209], v[0:1], off offset:1696
	global_load_dwordx4 v[80:83], v[0:1], off offset:1680
	ds_read2_b64 v[104:107], v107 offset0:96 offset1:240
	v_lshlrev_b32_e32 v3, 3, v3
	v_mov_b32_e32 v103, v5
	v_mov_b32_e32 v95, v97
	;; [unrolled: 1-line block ×3, first 2 shown]
	s_waitcnt vmcnt(0)
	v_mov_b32_e32 v4, v83
	s_waitcnt lgkmcnt(0)
	v_pk_mul_f32 v[0:1], v[106:107], v[4:5] op_sel_hi:[1,0]
	v_accvgpr_write_b32 a70, v83
	v_pk_fma_f32 v[6:7], v[106:107], v[82:83], v[0:1] op_sel:[0,0,1] op_sel_hi:[1,1,0] neg_lo:[0,0,1] neg_hi:[0,0,1]
	v_pk_fma_f32 v[8:9], v[106:107], v[82:83], v[0:1] op_sel:[0,0,1] op_sel_hi:[1,0,0]
	v_mad_u64_u32 v[0:1], s[22:23], v120, 24, s[10:11]
	global_load_dwordx2 v[222:223], v[0:1], off offset:3424
	global_load_dwordx4 v[84:87], v[0:1], off offset:3408
	v_mov_b32_e32 v83, v123
	v_add_u32_e32 v7, 0xd00, v216
	v_accvgpr_write_b32 a35, v7
	s_mov_b64 s[22:23], 0x35d0
	s_waitcnt vmcnt(0)
	v_mov_b32_e32 v4, v87
	v_pk_mul_f32 v[10:11], v[104:105], v[4:5] op_sel_hi:[1,0]
	v_add_u32_e32 v4, 0xffffffb8, v120
	v_pk_fma_f32 v[12:13], v[104:105], v[86:87], v[10:11] op_sel:[0,0,1] op_sel_hi:[1,1,0] neg_lo:[0,0,1] neg_hi:[0,0,1]
	v_pk_fma_f32 v[10:11], v[104:105], v[86:87], v[10:11] op_sel:[0,0,1] op_sel_hi:[1,0,0]
	ds_read2_b64 v[104:107], v188 offset1:144
	v_cndmask_b32_e32 v4, v4, v72, vcc
	v_mul_hi_i32_i24_e32 v31, 24, v4
	v_mul_i32_i24_e32 v30, 24, v4
	v_lshl_add_u64 v[30:31], s[10:11], 0, v[30:31]
	s_waitcnt lgkmcnt(0)
	v_pk_mul_f32 v[14:15], v[106:107], v[80:81] op_sel_hi:[1,0]
	v_pk_mul_f32 v[18:19], v[104:105], v[84:85] op_sel_hi:[1,0]
	v_pk_fma_f32 v[16:17], v[106:107], v[80:81], v[14:15] op_sel:[0,1,1] op_sel_hi:[1,1,0]
	v_pk_fma_f32 v[14:15], v[106:107], v[80:81], v[14:15] op_sel:[0,1,1] op_sel_hi:[1,1,0] neg_lo:[1,0,0] neg_hi:[1,0,0]
	v_pk_fma_f32 v[20:21], v[104:105], v[84:85], v[18:19] op_sel:[0,1,1] op_sel_hi:[1,1,0]
	v_pk_fma_f32 v[18:19], v[104:105], v[84:85], v[18:19] op_sel:[0,1,1] op_sel_hi:[1,1,0] neg_lo:[1,0,0] neg_hi:[1,0,0]
	ds_read2_b64 v[104:107], v200 offset0:64 offset1:208
	global_load_dwordx2 v[240:241], v[0:1], off offset:1696
	global_load_dwordx4 v[108:111], v[0:1], off offset:1680
	ds_read2_b64 v[226:229], v122 offset0:96 offset1:240
	v_mov_b32_e32 v13, v11
	v_mov_b32_e32 v21, v19
	s_waitcnt lgkmcnt(1)
	v_pk_mul_f32 v[22:23], v[106:107], v[208:209] op_sel_hi:[1,0]
	v_pk_mul_f32 v[26:27], v[104:105], v[222:223] op_sel_hi:[1,0]
	v_pk_fma_f32 v[24:25], v[106:107], v[208:209], v[22:23] op_sel:[0,1,1] op_sel_hi:[1,1,0]
	v_pk_fma_f32 v[22:23], v[106:107], v[208:209], v[22:23] op_sel:[0,1,1] op_sel_hi:[1,1,0] neg_lo:[1,0,0] neg_hi:[1,0,0]
	v_pk_fma_f32 v[28:29], v[104:105], v[222:223], v[26:27] op_sel:[0,1,1] op_sel_hi:[1,1,0]
	v_pk_fma_f32 v[26:27], v[104:105], v[222:223], v[26:27] op_sel:[0,1,1] op_sel_hi:[1,1,0] neg_lo:[1,0,0] neg_hi:[1,0,0]
	global_load_dwordx2 v[234:235], v[30:31], off offset:1696
	global_load_dwordx4 v[104:107], v[30:31], off offset:1680
	v_mov_b32_e32 v29, v27
	v_cmp_lt_u16_e32 vcc, s12, v120
	v_mov_b32_e32 v17, v15
	v_mov_b32_e32 v25, v23
	v_accvgpr_write_b32 a72, v87
	v_add_u32_e32 v87, 0x4300, v3
	s_movk_i32 s12, 0x360
	s_waitcnt vmcnt(2) lgkmcnt(0)
	v_pk_mul_f32 v[32:33], v[226:227], v[108:109] op_sel:[0,1]
	s_nop 0
	v_pk_fma_f32 v[34:35], v[226:227], v[108:109], v[32:33] op_sel:[0,0,1] op_sel_hi:[1,1,0] neg_lo:[0,0,1] neg_hi:[0,0,1]
	v_pk_fma_f32 v[32:33], v[226:227], v[108:109], v[32:33] op_sel:[0,0,1] op_sel_hi:[1,0,0]
	v_mov_b32_e32 v8, v111
	v_mov_b32_e32 v35, v33
	v_accvgpr_write_b32 a88, v111
	s_waitcnt vmcnt(0)
	v_pk_mul_f32 v[30:31], v[228:229], v[104:105] op_sel:[0,1]
	s_nop 0
	v_pk_fma_f32 v[36:37], v[228:229], v[104:105], v[30:31] op_sel:[0,0,1] op_sel_hi:[1,1,0] neg_lo:[0,0,1] neg_hi:[0,0,1]
	v_pk_fma_f32 v[30:31], v[228:229], v[104:105], v[30:31] op_sel:[0,0,1] op_sel_hi:[1,0,0]
	ds_read2_b64 v[226:229], v123 offset0:64 offset1:208
	v_mov_b32_e32 v37, v31
	v_accvgpr_write_b32 a84, v107
	s_waitcnt lgkmcnt(0)
	v_pk_mul_f32 v[38:39], v[226:227], v[8:9] op_sel_hi:[1,0]
	v_mov_b32_e32 v8, v107
	v_pk_mul_f32 v[42:43], v[228:229], v[8:9] op_sel_hi:[1,0]
	v_pk_fma_f32 v[40:41], v[226:227], v[110:111], v[38:39] op_sel:[0,0,1] op_sel_hi:[1,1,0] neg_lo:[0,0,1] neg_hi:[0,0,1]
	v_pk_fma_f32 v[38:39], v[226:227], v[110:111], v[38:39] op_sel:[0,0,1] op_sel_hi:[1,0,0]
	v_pk_fma_f32 v[44:45], v[228:229], v[106:107], v[42:43] op_sel:[0,0,1] op_sel_hi:[1,1,0] neg_lo:[0,0,1] neg_hi:[0,0,1]
	v_pk_fma_f32 v[42:43], v[228:229], v[106:107], v[42:43] op_sel:[0,0,1] op_sel_hi:[1,0,0]
	ds_read2_b64 v[226:229], v221 offset0:32 offset1:176
	v_mov_b32_e32 v41, v39
	v_mov_b32_e32 v45, v43
	v_add_u32_e32 v111, 0x2a00, v216
	s_waitcnt lgkmcnt(0)
	v_pk_mul_f32 v[46:47], v[226:227], v[240:241] op_sel:[0,1]
	v_pk_mul_f32 v[122:123], v[228:229], v[234:235] op_sel:[0,1]
	v_pk_fma_f32 v[74:75], v[226:227], v[240:241], v[46:47] op_sel:[0,0,1] op_sel_hi:[1,1,0] neg_lo:[0,0,1] neg_hi:[0,0,1]
	v_pk_fma_f32 v[46:47], v[226:227], v[240:241], v[46:47] op_sel:[0,0,1] op_sel_hi:[1,0,0]
	v_pk_fma_f32 v[190:191], v[228:229], v[234:235], v[122:123] op_sel:[0,0,1] op_sel_hi:[1,1,0] neg_lo:[0,0,1] neg_hi:[0,0,1]
	v_pk_fma_f32 v[122:123], v[228:229], v[234:235], v[122:123] op_sel:[0,0,1] op_sel_hi:[1,0,0]
	ds_read2_b64 v[226:229], v216 offset1:144
	ds_read2_b64 v[236:239], v236 offset0:64 offset1:208
	ds_read2_b64 v[248:251], v161 offset0:32 offset1:176
	v_mov_b32_e32 v75, v47
	v_pk_add_f32 v[38:39], v[34:35], v[74:75] neg_lo:[0,1] neg_hi:[0,1]
	v_mov_b32_e32 v191, v123
	s_waitcnt lgkmcnt(2)
	v_pk_add_f32 v[32:33], v[226:227], v[40:41] neg_lo:[0,1] neg_hi:[0,1]
	v_pk_fma_f32 v[34:35], v[34:35], 2.0, v[38:39] op_sel_hi:[1,0,1] neg_lo:[0,0,1] neg_hi:[0,0,1]
	v_pk_add_f32 v[40:41], v[32:33], v[38:39] op_sel:[0,1] op_sel_hi:[1,0] neg_lo:[0,1] neg_hi:[0,1]
	v_pk_add_f32 v[38:39], v[32:33], v[38:39] op_sel:[0,1] op_sel_hi:[1,0]
	s_waitcnt lgkmcnt(0)
	v_pk_add_f32 v[10:11], v[248:249], v[12:13] neg_lo:[0,1] neg_hi:[0,1]
	v_mov_b32_e32 v41, v39
	v_pk_fma_f32 v[38:39], v[226:227], 2.0, v[32:33] op_sel_hi:[1,0,1] neg_lo:[0,0,1] neg_hi:[0,0,1]
	v_pk_add_f32 v[12:13], v[20:21], v[28:29] neg_lo:[0,1] neg_hi:[0,1]
	v_pk_add_f32 v[34:35], v[38:39], v[34:35] neg_lo:[0,1] neg_hi:[0,1]
	v_pk_fma_f32 v[32:33], v[32:33], 2.0, v[40:41] op_sel_hi:[1,0,1] neg_lo:[0,0,1] neg_hi:[0,0,1]
	v_pk_fma_f32 v[38:39], v[38:39], 2.0, v[34:35] op_sel_hi:[1,0,1] neg_lo:[0,0,1] neg_hi:[0,0,1]
	v_pk_add_f32 v[18:19], v[10:11], v[12:13] neg_lo:[0,1] neg_hi:[0,1]
	v_pk_add_f32 v[26:27], v[10:11], v[12:13]
	s_barrier
	ds_write2_b64 v216, v[38:39], v[32:33] offset1:216
	ds_write2_b64 v7, v[34:35], v[40:41] offset0:16 offset1:232
	v_pk_add_f32 v[30:31], v[228:229], v[44:45] neg_lo:[0,1] neg_hi:[0,1]
	v_pk_add_f32 v[34:35], v[36:37], v[190:191] neg_lo:[0,1] neg_hi:[0,1]
	v_mov_b32_e32 v7, 0x360
	v_mov_b32_e32 v19, v27
	v_pk_fma_f32 v[32:33], v[228:229], 2.0, v[30:31] op_sel_hi:[1,0,1] neg_lo:[0,0,1] neg_hi:[0,0,1]
	v_pk_fma_f32 v[36:37], v[36:37], 2.0, v[34:35] op_sel_hi:[1,0,1] neg_lo:[0,0,1] neg_hi:[0,0,1]
	v_pk_add_f32 v[38:39], v[30:31], v[34:35] op_sel:[0,1] op_sel_hi:[1,0] neg_lo:[0,1] neg_hi:[0,1]
	v_pk_add_f32 v[34:35], v[30:31], v[34:35] op_sel:[0,1] op_sel_hi:[1,0]
	v_cndmask_b32_e32 v7, 0, v7, vcc
	v_pk_fma_f32 v[12:13], v[20:21], 2.0, v[12:13] op_sel_hi:[1,0,1] neg_lo:[0,0,1] neg_hi:[0,0,1]
	v_pk_fma_f32 v[20:21], v[10:11], 2.0, v[18:19] op_sel_hi:[1,0,1] neg_lo:[0,0,1] neg_hi:[0,0,1]
	;; [unrolled: 1-line block ×3, first 2 shown]
	v_mov_b32_e32 v39, v35
	v_add_lshl_u32 v67, v4, v7, 3
	v_pk_add_f32 v[34:35], v[32:33], v[36:37] neg_lo:[0,1] neg_hi:[0,1]
	v_pk_add_f32 v[12:13], v[10:11], v[12:13] op_sel:[0,1] op_sel_hi:[1,0] neg_lo:[0,1] neg_hi:[0,1]
	v_mov_b32_e32 v7, v9
	v_pk_fma_f32 v[32:33], v[32:33], 2.0, v[34:35] op_sel_hi:[1,0,1] neg_lo:[0,0,1] neg_hi:[0,0,1]
	v_pk_fma_f32 v[30:31], v[30:31], 2.0, v[38:39] op_sel_hi:[1,0,1] neg_lo:[0,0,1] neg_hi:[0,0,1]
	v_add_u32_e32 v159, 0xd00, v67
	v_pk_fma_f32 v[10:11], v[10:11], 2.0, v[12:13] op_sel_hi:[1,0,1] neg_lo:[0,0,1] neg_hi:[0,0,1]
	v_pk_add_f32 v[6:7], v[250:251], v[6:7] neg_lo:[0,1] neg_hi:[0,1]
	v_pk_add_f32 v[8:9], v[16:17], v[24:25] neg_lo:[0,1] neg_hi:[0,1]
	ds_write2_b64 v67, v[32:33], v[30:31] offset1:216
	ds_write2_b64 v159, v[34:35], v[38:39] offset0:16 offset1:232
	ds_write2_b64 v135, v[10:11], v[20:21] offset0:8 offset1:224
	;; [unrolled: 1-line block ×3, first 2 shown]
	v_pk_add_f32 v[10:11], v[6:7], v[8:9] neg_lo:[0,1] neg_hi:[0,1]
	v_pk_add_f32 v[12:13], v[6:7], v[8:9]
	v_pk_fma_f32 v[8:9], v[16:17], 2.0, v[8:9] op_sel_hi:[1,0,1] neg_lo:[0,0,1] neg_hi:[0,0,1]
	v_mov_b32_e32 v11, v13
	v_pk_fma_f32 v[12:13], v[250:251], 2.0, v[6:7] op_sel_hi:[1,0,1] neg_lo:[0,0,1] neg_hi:[0,0,1]
	v_pk_fma_f32 v[6:7], v[6:7], 2.0, v[10:11] op_sel_hi:[1,0,1] neg_lo:[0,0,1] neg_hi:[0,0,1]
	v_pk_add_f32 v[8:9], v[12:13], v[8:9] op_sel:[0,1] op_sel_hi:[1,0] neg_lo:[0,1] neg_hi:[0,1]
	v_add_u32_e32 v4, 0x3600, v3
	v_pk_fma_f32 v[12:13], v[12:13], 2.0, v[8:9] op_sel_hi:[1,0,1] neg_lo:[0,0,1] neg_hi:[0,0,1]
	v_mov_b32_e32 v3, v93
	ds_write2_b64 v4, v[12:13], v[6:7] offset1:216
	v_accvgpr_write_b32 a39, v4
	v_pk_add_f32 v[2:3], v[236:237], v[2:3] neg_lo:[0,1] neg_hi:[0,1]
	v_pk_add_f32 v[4:5], v[98:99], v[102:103] neg_lo:[0,1] neg_hi:[0,1]
	ds_write2_b64 v87, v[8:9], v[10:11] offset0:16 offset1:232
	v_pk_add_f32 v[6:7], v[2:3], v[4:5] neg_lo:[0,1] neg_hi:[0,1]
	v_pk_add_f32 v[8:9], v[2:3], v[4:5]
	v_pk_fma_f32 v[4:5], v[98:99], 2.0, v[4:5] op_sel_hi:[1,0,1] neg_lo:[0,0,1] neg_hi:[0,0,1]
	v_mov_b32_e32 v7, v9
	v_mad_legacy_u16 v8, v48, s12, v50
	v_lshlrev_b32_e32 v131, 3, v8
	v_pk_fma_f32 v[8:9], v[2:3], 2.0, v[6:7] op_sel_hi:[1,0,1] neg_lo:[0,0,1] neg_hi:[0,0,1]
	v_pk_fma_f32 v[2:3], v[236:237], 2.0, v[2:3] op_sel_hi:[1,0,1] neg_lo:[0,0,1] neg_hi:[0,0,1]
	v_add_u32_e32 v107, 0xd00, v131
	v_pk_add_f32 v[4:5], v[2:3], v[4:5] op_sel:[0,1] op_sel_hi:[1,0] neg_lo:[0,1] neg_hi:[0,1]
	ds_write2_b64 v107, v[4:5], v[6:7] offset0:16 offset1:232
	v_pk_fma_f32 v[2:3], v[2:3], 2.0, v[4:5] op_sel_hi:[1,0,1] neg_lo:[0,0,1] neg_hi:[0,0,1]
	ds_write2_b64 v131, v[2:3], v[8:9] offset1:216
	v_pk_add_f32 v[2:3], v[238:239], v[76:77] neg_lo:[0,1] neg_hi:[0,1]
	v_pk_add_f32 v[4:5], v[78:79], v[94:95] neg_lo:[0,1] neg_hi:[0,1]
	v_lshlrev_b32_e32 v10, 3, v49
	v_pk_add_f32 v[6:7], v[2:3], v[4:5] neg_lo:[0,1] neg_hi:[0,1]
	v_pk_add_f32 v[8:9], v[2:3], v[4:5]
	v_pk_fma_f32 v[4:5], v[78:79], 2.0, v[4:5] op_sel_hi:[1,0,1] neg_lo:[0,0,1] neg_hi:[0,0,1]
	v_mov_b32_e32 v7, v9
	v_pk_fma_f32 v[8:9], v[238:239], 2.0, v[2:3] op_sel_hi:[1,0,1] neg_lo:[0,0,1] neg_hi:[0,0,1]
	v_pk_fma_f32 v[2:3], v[2:3], 2.0, v[6:7] op_sel_hi:[1,0,1] neg_lo:[0,0,1] neg_hi:[0,0,1]
	v_pk_add_f32 v[4:5], v[8:9], v[4:5] op_sel:[0,1] op_sel_hi:[1,0] neg_lo:[0,1] neg_hi:[0,1]
	v_add_u32_e32 v11, 0x5000, v10
	v_pk_fma_f32 v[8:9], v[8:9], 2.0, v[4:5] op_sel_hi:[1,0,1] neg_lo:[0,0,1] neg_hi:[0,0,1]
	ds_write2_b64 v11, v[8:9], v[2:3] offset0:32 offset1:248
	v_add_u32_e32 v2, 0x5e00, v10
	ds_write2_b64 v2, v[4:5], v[6:7] offset0:16 offset1:232
	v_add_co_u32_e32 v4, vcc, s19, v0
	v_accvgpr_write_b32 a41, v2
	v_mad_u64_u32 v[2:3], s[10:11], v72, 24, s[10:11]
	v_addc_co_u32_e32 v5, vcc, 0, v1, vcc
	v_add_co_u32_e32 v6, vcc, s19, v2
	s_waitcnt lgkmcnt(0)
	s_barrier
	v_addc_co_u32_e32 v7, vcc, 0, v3, vcc
	global_load_dwordx4 v[88:91], v[4:5], off offset:2768
	global_load_dwordx4 v[72:75], v[6:7], off offset:2768
	s_mov_b64 s[10:11], 0x1ad0
	v_lshl_add_u64 v[0:1], v[0:1], 0, s[10:11]
	global_load_dwordx2 v[238:239], v[0:1], off offset:16
	v_lshl_add_u64 v[0:1], v[2:3], 0, s[10:11]
	global_load_dwordx2 v[236:237], v[0:1], off offset:16
	ds_read2_b64 v[76:79], v71 offset0:96 offset1:240
	v_accvgpr_write_b32 a37, v11
	s_mov_b64 s[10:11], 0x2850
	v_lshl_add_u64 v[0:1], v[2:3], 0, s[10:11]
	v_add_co_u32_e32 v26, vcc, s18, v2
	global_load_dwordx2 v[228:229], v[0:1], off offset:16
	v_lshl_add_u64 v[0:1], v[2:3], 0, s[22:23]
	v_addc_co_u32_e32 v27, vcc, 0, v3, vcc
	global_load_dwordx2 v[226:227], v[0:1], off offset:16
	v_add_co_u32_e32 v28, vcc, s17, v2
	s_mov_b64 s[10:11], 0x4350
	s_nop 0
	v_addc_co_u32_e32 v29, vcc, 0, v3, vcc
	s_waitcnt vmcnt(5) lgkmcnt(0)
	v_pk_mul_f32 v[4:5], v[76:77], v[88:89] op_sel:[0,1]
	s_waitcnt vmcnt(4)
	v_pk_mul_f32 v[8:9], v[78:79], v[72:73] op_sel:[0,1]
	v_pk_fma_f32 v[6:7], v[76:77], v[88:89], v[4:5] op_sel:[0,0,1] op_sel_hi:[1,1,0] neg_lo:[0,0,1] neg_hi:[0,0,1]
	v_pk_fma_f32 v[4:5], v[76:77], v[88:89], v[4:5] op_sel:[0,0,1] op_sel_hi:[1,0,0]
	v_pk_fma_f32 v[10:11], v[78:79], v[72:73], v[8:9] op_sel:[0,0,1] op_sel_hi:[1,1,0] neg_lo:[0,0,1] neg_hi:[0,0,1]
	v_pk_fma_f32 v[8:9], v[78:79], v[72:73], v[8:9] op_sel:[0,0,1] op_sel_hi:[1,0,0]
	ds_read2_b64 v[76:79], v83 offset0:64 offset1:208
	v_mov_b32_e32 v4, v91
	v_mov_b32_e32 v7, v5
	;; [unrolled: 1-line block ×3, first 2 shown]
	v_accvgpr_write_b32 a76, v75
	s_waitcnt lgkmcnt(0)
	v_pk_mul_f32 v[12:13], v[76:77], v[4:5] op_sel_hi:[1,0]
	v_mov_b32_e32 v4, v75
	v_pk_mul_f32 v[16:17], v[78:79], v[4:5] op_sel_hi:[1,0]
	v_pk_fma_f32 v[14:15], v[76:77], v[90:91], v[12:13] op_sel:[0,0,1] op_sel_hi:[1,1,0] neg_lo:[0,0,1] neg_hi:[0,0,1]
	v_pk_fma_f32 v[12:13], v[76:77], v[90:91], v[12:13] op_sel:[0,0,1] op_sel_hi:[1,0,0]
	v_pk_fma_f32 v[18:19], v[78:79], v[74:75], v[16:17] op_sel:[0,0,1] op_sel_hi:[1,1,0] neg_lo:[0,0,1] neg_hi:[0,0,1]
	v_pk_fma_f32 v[16:17], v[78:79], v[74:75], v[16:17] op_sel:[0,0,1] op_sel_hi:[1,0,0]
	ds_read2_b64 v[76:79], v221 offset0:32 offset1:176
	v_mov_b32_e32 v15, v13
	v_mov_b32_e32 v19, v17
	v_add_u32_e32 v75, 0x4200, v216
	v_accvgpr_write_b32 a80, v91
	s_waitcnt vmcnt(3) lgkmcnt(0)
	v_pk_mul_f32 v[0:1], v[76:77], v[238:239] op_sel:[0,1]
	s_waitcnt vmcnt(2)
	v_pk_mul_f32 v[22:23], v[78:79], v[236:237] op_sel:[0,1]
	v_pk_fma_f32 v[20:21], v[76:77], v[238:239], v[0:1] op_sel:[0,0,1] op_sel_hi:[1,1,0] neg_lo:[0,0,1] neg_hi:[0,0,1]
	v_pk_fma_f32 v[0:1], v[76:77], v[238:239], v[0:1] op_sel:[0,0,1] op_sel_hi:[1,0,0]
	v_pk_fma_f32 v[24:25], v[78:79], v[236:237], v[22:23] op_sel:[0,0,1] op_sel_hi:[1,1,0] neg_lo:[0,0,1] neg_hi:[0,0,1]
	v_pk_fma_f32 v[22:23], v[78:79], v[236:237], v[22:23] op_sel:[0,0,1] op_sel_hi:[1,0,0]
	global_load_dwordx4 v[92:95], v[26:27], off offset:2128
	global_load_dwordx4 v[76:79], v[28:29], off offset:1488
	ds_read2_b64 v[96:99], v188 offset1:144
	v_mov_b32_e32 v21, v1
	v_mov_b32_e32 v25, v23
	;; [unrolled: 1-line block ×3, first 2 shown]
	s_waitcnt vmcnt(1) lgkmcnt(0)
	v_pk_mul_f32 v[26:27], v[96:97], v[92:93] op_sel:[0,1]
	s_waitcnt vmcnt(0)
	v_pk_mul_f32 v[30:31], v[98:99], v[76:77] op_sel:[0,1]
	v_pk_fma_f32 v[28:29], v[96:97], v[92:93], v[26:27] op_sel:[0,0,1] op_sel_hi:[1,1,0] neg_lo:[0,0,1] neg_hi:[0,0,1]
	v_pk_fma_f32 v[52:53], v[96:97], v[92:93], v[26:27] op_sel:[0,0,1] op_sel_hi:[1,0,0]
	v_pk_fma_f32 v[32:33], v[98:99], v[76:77], v[30:31] op_sel:[0,0,1] op_sel_hi:[1,1,0] neg_lo:[0,0,1] neg_hi:[0,0,1]
	v_pk_fma_f32 v[48:49], v[98:99], v[76:77], v[30:31] op_sel:[0,0,1] op_sel_hi:[1,0,0]
	ds_read2_b64 v[96:99], v51 offset0:96 offset1:240
	v_mov_b32_e32 v0, v95
	v_mov_b32_e32 v52, v51
	;; [unrolled: 1-line block ×3, first 2 shown]
	v_accvgpr_write_b32 a86, v95
	s_waitcnt lgkmcnt(0)
	v_pk_mul_f32 v[34:35], v[96:97], v[0:1] op_sel_hi:[1,0]
	v_mov_b32_e32 v0, v79
	v_pk_mul_f32 v[38:39], v[98:99], v[0:1] op_sel_hi:[1,0]
	v_pk_fma_f32 v[36:37], v[96:97], v[94:95], v[34:35] op_sel:[0,0,1] op_sel_hi:[1,1,0] neg_lo:[0,0,1] neg_hi:[0,0,1]
	v_pk_fma_f32 v[34:35], v[96:97], v[94:95], v[34:35] op_sel:[0,0,1] op_sel_hi:[1,0,0]
	v_pk_fma_f32 v[40:41], v[98:99], v[78:79], v[38:39] op_sel:[0,0,1] op_sel_hi:[1,1,0] neg_lo:[0,0,1] neg_hi:[0,0,1]
	v_pk_fma_f32 v[38:39], v[98:99], v[78:79], v[38:39] op_sel:[0,0,1] op_sel_hi:[1,0,0]
	ds_read2_b64 v[96:99], v200 offset0:64 offset1:208
	v_mov_b32_e32 v34, v200
	v_mov_b32_e32 v38, v201
	;; [unrolled: 1-line block ×3, first 2 shown]
	v_accvgpr_read_b32 v95, a3
	s_waitcnt lgkmcnt(0)
	v_pk_mul_f32 v[42:43], v[96:97], v[228:229] op_sel:[0,1]
	v_pk_mul_f32 v[46:47], v[98:99], v[226:227] op_sel:[0,1]
	v_pk_fma_f32 v[44:45], v[96:97], v[228:229], v[42:43] op_sel:[0,0,1] op_sel_hi:[1,1,0] neg_lo:[0,0,1] neg_hi:[0,0,1]
	v_pk_fma_f32 v[42:43], v[96:97], v[228:229], v[42:43] op_sel:[0,0,1] op_sel_hi:[1,0,0]
	v_pk_fma_f32 v[122:123], v[98:99], v[226:227], v[46:47] op_sel:[0,0,1] op_sel_hi:[1,1,0] neg_lo:[0,0,1] neg_hi:[0,0,1]
	v_pk_fma_f32 v[46:47], v[98:99], v[226:227], v[46:47] op_sel:[0,0,1] op_sel_hi:[1,0,0]
	ds_read2_b64 v[96:99], v216 offset1:144
	v_mov_b32_e32 v45, v43
	v_mov_b32_e32 v33, v49
	;; [unrolled: 1-line block ×4, first 2 shown]
	s_waitcnt lgkmcnt(0)
	v_pk_add_f32 v[8:9], v[96:97], v[14:15] neg_lo:[0,1] neg_hi:[0,1]
	v_pk_add_f32 v[14:15], v[6:7], v[20:21] neg_lo:[0,1] neg_hi:[0,1]
	;; [unrolled: 1-line block ×3, first 2 shown]
	v_pk_fma_f32 v[0:1], v[96:97], 2.0, v[8:9] op_sel_hi:[1,0,1] neg_lo:[0,0,1] neg_hi:[0,0,1]
	v_pk_fma_f32 v[6:7], v[6:7], 2.0, v[14:15] op_sel_hi:[1,0,1] neg_lo:[0,0,1] neg_hi:[0,0,1]
	v_pk_add_f32 v[18:19], v[10:11], v[24:25] neg_lo:[0,1] neg_hi:[0,1]
	v_pk_fma_f32 v[4:5], v[98:99], 2.0, v[12:13] op_sel_hi:[1,0,1] neg_lo:[0,0,1] neg_hi:[0,0,1]
	v_pk_add_f32 v[16:17], v[0:1], v[6:7] neg_lo:[0,1] neg_hi:[0,1]
	v_pk_fma_f32 v[6:7], v[10:11], 2.0, v[18:19] op_sel_hi:[1,0,1] neg_lo:[0,0,1] neg_hi:[0,0,1]
	v_pk_fma_f32 v[0:1], v[0:1], 2.0, v[16:17] op_sel_hi:[1,0,1] neg_lo:[0,0,1] neg_hi:[0,0,1]
	v_pk_add_f32 v[10:11], v[4:5], v[6:7] neg_lo:[0,1] neg_hi:[0,1]
	v_accvgpr_write_b32 a74, v79
	v_pk_fma_f32 v[20:21], v[4:5], 2.0, v[10:11] op_sel_hi:[1,0,1] neg_lo:[0,0,1] neg_hi:[0,0,1]
	ds_read2_b64 v[4:7], v161 offset0:32 offset1:176
	ds_write2_b64 v216, v[0:1], v[20:21] offset1:144
	v_add_co_u32_e32 v0, vcc, s13, v2
	s_nop 1
	v_addc_co_u32_e32 v1, vcc, 0, v3, vcc
	v_add_co_u32_e32 v20, vcc, s16, v2
	s_nop 1
	v_addc_co_u32_e32 v21, vcc, 0, v3, vcc
	global_load_dwordx4 v[100:103], v[0:1], off offset:848
	global_load_dwordx4 v[96:99], v[20:21], off offset:208
	ds_read2_b64 v[248:251], v201 offset0:32 offset1:176
	ds_write_b64 v216, v[16:17] offset:13824
	s_waitcnt vmcnt(1) lgkmcnt(1)
	v_pk_mul_f32 v[0:1], v[248:249], v[100:101] op_sel:[0,1]
	s_nop 0
	v_pk_fma_f32 v[20:21], v[248:249], v[100:101], v[0:1] op_sel:[0,0,1] op_sel_hi:[1,1,0] neg_lo:[0,0,1] neg_hi:[0,0,1]
	v_pk_fma_f32 v[30:31], v[248:249], v[100:101], v[0:1] op_sel:[0,0,1] op_sel_hi:[1,0,0]
	s_waitcnt vmcnt(0)
	v_pk_mul_f32 v[0:1], v[250:251], v[96:97] op_sel:[0,1]
	v_mov_b32_e32 v22, v103
	v_pk_fma_f32 v[24:25], v[250:251], v[96:97], v[0:1] op_sel:[0,0,1] op_sel_hi:[1,1,0] neg_lo:[0,0,1] neg_hi:[0,0,1]
	v_pk_fma_f32 v[190:191], v[250:251], v[96:97], v[0:1] op_sel:[0,0,1] op_sel_hi:[1,0,0]
	ds_read2_b64 v[248:251], v189 offset1:144
	v_mov_b32_e32 v21, v31
	v_mov_b32_e32 v25, v191
	v_accvgpr_write_b32 a78, v99
	v_accvgpr_write_b32 a82, v103
	s_waitcnt lgkmcnt(0)
	v_pk_mul_f32 v[0:1], v[248:249], v[22:23] op_sel_hi:[1,0]
	s_nop 0
	v_pk_fma_f32 v[22:23], v[248:249], v[102:103], v[0:1] op_sel:[0,0,1] op_sel_hi:[1,0,0]
	v_pk_fma_f32 v[200:201], v[248:249], v[102:103], v[0:1] op_sel:[0,0,1] op_sel_hi:[1,1,0] neg_lo:[0,0,1] neg_hi:[0,0,1]
	v_mov_b32_e32 v22, v99
	v_pk_mul_f32 v[0:1], v[250:251], v[22:23] op_sel_hi:[1,0]
	v_mov_b32_e32 v22, v220
	v_pk_fma_f32 v[50:51], v[250:251], v[98:99], v[0:1] op_sel:[0,0,1] op_sel_hi:[1,1,0] neg_lo:[0,0,1] neg_hi:[0,0,1]
	v_pk_fma_f32 v[26:27], v[250:251], v[98:99], v[0:1] op_sel:[0,0,1] op_sel_hi:[1,0,0]
	v_lshl_add_u64 v[0:1], v[2:3], 0, s[10:11]
	s_mov_b64 s[10:11], 0x50d0
	global_load_dwordx2 v[250:251], v[0:1], off offset:16
	v_lshl_add_u64 v[0:1], v[2:3], 0, s[10:11]
	global_load_dwordx2 v[248:249], v[0:1], off offset:16
	ds_read2_b64 v[0:3], v220 offset0:96 offset1:240
	v_pk_add_f32 v[220:221], v[8:9], v[14:15] op_sel:[0,1] op_sel_hi:[1,0] neg_lo:[0,1] neg_hi:[0,1]
	v_mov_b32_e32 v201, v23
	v_mov_b32_e32 v51, v27
	;; [unrolled: 1-line block ×3, first 2 shown]
	s_mov_b32 s10, -0.5
	s_mov_b32 s11, s6
	v_mov_b32_e32 v103, v63
	s_waitcnt vmcnt(1) lgkmcnt(0)
	v_pk_mul_f32 v[54:55], v[0:1], v[250:251] op_sel:[0,1]
	s_nop 0
	v_pk_fma_f32 v[252:253], v[0:1], v[250:251], v[54:55] op_sel:[0,0,1] op_sel_hi:[1,1,0] neg_lo:[0,0,1] neg_hi:[0,0,1]
	v_pk_fma_f32 v[54:55], v[0:1], v[250:251], v[54:55] op_sel:[0,0,1] op_sel_hi:[1,0,0]
	s_waitcnt vmcnt(0)
	v_pk_mul_f32 v[0:1], v[2:3], v[248:249] op_sel:[0,1]
	v_mov_b32_e32 v253, v55
	v_pk_fma_f32 v[254:255], v[2:3], v[248:249], v[0:1] op_sel:[0,0,1] op_sel_hi:[1,1,0] neg_lo:[0,0,1] neg_hi:[0,0,1]
	v_pk_fma_f32 v[246:247], v[2:3], v[248:249], v[0:1] op_sel:[0,0,1] op_sel_hi:[1,0,0]
	v_pk_add_f32 v[0:1], v[8:9], v[14:15] op_sel:[0,1] op_sel_hi:[1,0]
	v_pk_add_f32 v[14:15], v[12:13], v[18:19] op_sel:[0,1] op_sel_hi:[1,0] neg_lo:[0,1] neg_hi:[0,1]
	v_mov_b32_e32 v221, v1
	v_pk_add_f32 v[0:1], v[12:13], v[18:19] op_sel:[0,1] op_sel_hi:[1,0]
	v_pk_fma_f32 v[8:9], v[8:9], 2.0, v[220:221] op_sel_hi:[1,0,1] neg_lo:[0,0,1] neg_hi:[0,0,1]
	v_mov_b32_e32 v15, v1
	v_pk_fma_f32 v[12:13], v[12:13], 2.0, v[14:15] op_sel_hi:[1,0,1] neg_lo:[0,0,1] neg_hi:[0,0,1]
	ds_read2_b64 v[0:3], v63 offset0:64 offset1:208
	ds_write2_b64 v71, v[8:9], v[12:13] offset0:96 offset1:240
	ds_write2_b64 v59, v[220:221], v[14:15] offset0:32 offset1:176
	v_pk_add_f32 v[8:9], v[4:5], v[36:37] neg_lo:[0,1] neg_hi:[0,1]
	v_pk_add_f32 v[12:13], v[28:29], v[44:45] neg_lo:[0,1] neg_hi:[0,1]
	v_pk_fma_f32 v[4:5], v[4:5], 2.0, v[8:9] op_sel_hi:[1,0,1] neg_lo:[0,0,1] neg_hi:[0,0,1]
	v_pk_fma_f32 v[14:15], v[28:29], 2.0, v[12:13] op_sel_hi:[1,0,1] neg_lo:[0,0,1] neg_hi:[0,0,1]
	v_mov_b32_e32 v255, v247
	v_pk_add_f32 v[14:15], v[4:5], v[14:15] neg_lo:[0,1] neg_hi:[0,1]
	ds_write2_b64 v95, v[10:11], v[14:15] offset0:80 offset1:224
	v_pk_fma_f32 v[4:5], v[4:5], 2.0, v[14:15] op_sel_hi:[1,0,1] neg_lo:[0,0,1] neg_hi:[0,0,1]
	v_pk_add_f32 v[10:11], v[6:7], v[40:41] neg_lo:[0,1] neg_hi:[0,1]
	v_pk_add_f32 v[14:15], v[32:33], v[122:123] neg_lo:[0,1] neg_hi:[0,1]
	v_pk_fma_f32 v[6:7], v[6:7], 2.0, v[10:11] op_sel_hi:[1,0,1] neg_lo:[0,0,1] neg_hi:[0,0,1]
	v_pk_fma_f32 v[16:17], v[32:33], 2.0, v[14:15] op_sel_hi:[1,0,1] neg_lo:[0,0,1] neg_hi:[0,0,1]
	v_mov_b32_e32 v221, v22
	v_pk_add_f32 v[16:17], v[6:7], v[16:17] neg_lo:[0,1] neg_hi:[0,1]
	v_mov_b32_e32 v220, v34
	v_pk_fma_f32 v[6:7], v[6:7], 2.0, v[16:17] op_sel_hi:[1,0,1] neg_lo:[0,0,1] neg_hi:[0,0,1]
	ds_write2_b64 v161, v[4:5], v[6:7] offset0:32 offset1:176
	v_pk_add_f32 v[4:5], v[8:9], v[12:13] op_sel:[0,1] op_sel_hi:[1,0] neg_lo:[0,1] neg_hi:[0,1]
	v_pk_add_f32 v[6:7], v[8:9], v[12:13] op_sel:[0,1] op_sel_hi:[1,0]
	v_pk_add_f32 v[12:13], v[10:11], v[14:15] op_sel:[0,1] op_sel_hi:[1,0]
	v_mov_b32_e32 v5, v7
	v_pk_add_f32 v[6:7], v[10:11], v[14:15] op_sel:[0,1] op_sel_hi:[1,0] neg_lo:[0,1] neg_hi:[0,1]
	v_pk_fma_f32 v[8:9], v[8:9], 2.0, v[4:5] op_sel_hi:[1,0,1] neg_lo:[0,0,1] neg_hi:[0,0,1]
	v_mov_b32_e32 v7, v13
	v_pk_fma_f32 v[10:11], v[10:11], 2.0, v[6:7] op_sel_hi:[1,0,1] neg_lo:[0,0,1] neg_hi:[0,0,1]
	ds_write2_b64 v188, v[8:9], v[10:11] offset1:144
	ds_write2_b64 v34, v[4:5], v[6:7] offset0:64 offset1:208
	s_waitcnt lgkmcnt(6)
	v_pk_add_f32 v[4:5], v[0:1], v[200:201] neg_lo:[0,1] neg_hi:[0,1]
	v_pk_add_f32 v[6:7], v[20:21], v[252:253] neg_lo:[0,1] neg_hi:[0,1]
	v_pk_fma_f32 v[0:1], v[0:1], 2.0, v[4:5] op_sel_hi:[1,0,1] neg_lo:[0,0,1] neg_hi:[0,0,1]
	v_pk_fma_f32 v[8:9], v[20:21], 2.0, v[6:7] op_sel_hi:[1,0,1] neg_lo:[0,0,1] neg_hi:[0,0,1]
	v_pk_add_f32 v[10:11], v[24:25], v[254:255] neg_lo:[0,1] neg_hi:[0,1]
	v_pk_add_f32 v[8:9], v[0:1], v[8:9] neg_lo:[0,1] neg_hi:[0,1]
	ds_write2_b64 v75, v[16:17], v[8:9] offset0:48 offset1:192
	v_pk_fma_f32 v[0:1], v[0:1], 2.0, v[8:9] op_sel_hi:[1,0,1] neg_lo:[0,0,1] neg_hi:[0,0,1]
	v_pk_add_f32 v[8:9], v[2:3], v[50:51] neg_lo:[0,1] neg_hi:[0,1]
	v_pk_fma_f32 v[12:13], v[24:25], 2.0, v[10:11] op_sel_hi:[1,0,1] neg_lo:[0,0,1] neg_hi:[0,0,1]
	v_pk_fma_f32 v[2:3], v[2:3], 2.0, v[8:9] op_sel_hi:[1,0,1] neg_lo:[0,0,1] neg_hi:[0,0,1]
	v_mov_b32_e32 v246, v38
	v_pk_add_f32 v[12:13], v[2:3], v[12:13] neg_lo:[0,1] neg_hi:[0,1]
	ds_write_b64 v216, v[12:13] offset:19584
	v_pk_fma_f32 v[2:3], v[2:3], 2.0, v[12:13] op_sel_hi:[1,0,1] neg_lo:[0,0,1] neg_hi:[0,0,1]
	ds_write2_b64 v63, v[0:1], v[2:3] offset0:64 offset1:208
	v_pk_add_f32 v[0:1], v[4:5], v[6:7] op_sel:[0,1] op_sel_hi:[1,0] neg_lo:[0,1] neg_hi:[0,1]
	v_pk_add_f32 v[2:3], v[4:5], v[6:7] op_sel:[0,1] op_sel_hi:[1,0]
	v_pk_add_f32 v[6:7], v[8:9], v[10:11] op_sel:[0,1] op_sel_hi:[1,0]
	v_mov_b32_e32 v1, v3
	v_pk_add_f32 v[2:3], v[8:9], v[10:11] op_sel:[0,1] op_sel_hi:[1,0] neg_lo:[0,1] neg_hi:[0,1]
	v_pk_fma_f32 v[4:5], v[4:5], 2.0, v[0:1] op_sel_hi:[1,0,1] neg_lo:[0,0,1] neg_hi:[0,0,1]
	v_mov_b32_e32 v3, v7
	v_pk_fma_f32 v[6:7], v[8:9], 2.0, v[2:3] op_sel_hi:[1,0,1] neg_lo:[0,0,1] neg_hi:[0,0,1]
	ds_write2_b64 v38, v[4:5], v[6:7] offset0:32 offset1:176
	ds_write2_b64 v22, v[0:1], v[2:3] offset0:96 offset1:240
	s_waitcnt lgkmcnt(0)
	s_barrier
	global_load_dwordx2 v[6:7], v216, s[14:15]
	global_load_dwordx2 v[8:9], v216, s[14:15] offset:1152
	global_load_dwordx2 v[122:123], v216, s[14:15] offset:2304
	;; [unrolled: 1-line block ×3, first 2 shown]
	ds_read2_b64 v[2:5], v216 offset1:144
	s_waitcnt vmcnt(3) lgkmcnt(0)
	v_mul_f32_e32 v10, v3, v7
	v_fma_f32 v10, v2, v6, -v10
	v_mul_f32_e32 v11, v2, v7
	s_waitcnt vmcnt(2)
	v_mul_f32_e32 v2, v5, v9
	v_mul_f32_e32 v7, v4, v9
	v_fmac_f32_e32 v11, v3, v6
	v_fma_f32 v6, v4, v8, -v2
	v_fmac_f32_e32 v7, v5, v8
	v_lshl_add_u64 v[8:9], s[14:15], 0, v[216:217]
	ds_write_b64 v216, v[10:11]
	v_add_co_u32_e32 v10, vcc, s19, v8
	s_nop 1
	v_addc_co_u32_e32 v11, vcc, 0, v9, vcc
	global_load_dwordx2 v[12:13], v[10:11], off offset:2816
	global_load_dwordx2 v[14:15], v[10:11], off offset:512
	ds_read2_b64 v[2:5], v63 offset0:64 offset1:208
	s_waitcnt vmcnt(0) lgkmcnt(0)
	v_mul_f32_e32 v16, v3, v15
	v_mul_f32_e32 v17, v2, v15
	v_fma_f32 v16, v2, v14, -v16
	v_fmac_f32_e32 v17, v3, v14
	global_load_dwordx2 v[2:3], v[10:11], off offset:1664
	s_waitcnt vmcnt(0)
	v_mul_f32_e32 v14, v5, v3
	v_mul_f32_e32 v15, v4, v3
	v_fma_f32 v14, v4, v2, -v14
	v_fmac_f32_e32 v15, v5, v2
	v_add_co_u32_e32 v2, vcc, s18, v8
	s_nop 1
	v_addc_co_u32_e32 v3, vcc, 0, v9, vcc
	global_load_dwordx2 v[18:19], v[2:3], off offset:1024
	global_load_dwordx2 v[20:21], v[2:3], off offset:2176
	;; [unrolled: 1-line block ×3, first 2 shown]
	s_nop 0
	global_load_dwordx2 v[10:11], v[10:11], off offset:3968
	ds_read2_b64 v[2:5], v188 offset1:144
	v_mov_b32_e32 v188, v52
	v_mov_b32_e32 v79, v188
	s_waitcnt vmcnt(3) lgkmcnt(0)
	v_mul_f32_e32 v24, v3, v19
	v_fma_f32 v24, v2, v18, -v24
	v_mul_f32_e32 v25, v2, v19
	s_waitcnt vmcnt(2)
	v_mul_f32_e32 v2, v5, v21
	v_fmac_f32_e32 v25, v3, v18
	v_fma_f32 v18, v4, v20, -v2
	v_add_co_u32_e32 v2, vcc, s17, v8
	v_mul_f32_e32 v19, v4, v21
	s_nop 0
	v_addc_co_u32_e32 v3, vcc, 0, v9, vcc
	v_fmac_f32_e32 v19, v5, v20
	global_load_dwordx2 v[20:21], v[2:3], off offset:1536
	global_load_dwordx2 v[26:27], v[2:3], off offset:2688
	;; [unrolled: 1-line block ×4, first 2 shown]
	ds_read2_b64 v[2:5], v83 offset0:64 offset1:208
	s_waitcnt vmcnt(3) lgkmcnt(0)
	v_mul_f32_e32 v32, v3, v21
	v_fma_f32 v32, v2, v20, -v32
	v_mul_f32_e32 v33, v2, v21
	s_waitcnt vmcnt(2)
	v_mul_f32_e32 v2, v5, v27
	v_fmac_f32_e32 v33, v3, v20
	v_fma_f32 v20, v4, v26, -v2
	v_mul_f32_e32 v21, v4, v27
	v_accvgpr_read_b32 v2, a30
	v_fmac_f32_e32 v21, v5, v26
	global_load_dwordx2 v[26:27], v2, s[14:15]
	ds_read2_b64 v[2:5], v189 offset1:144
	s_waitcnt vmcnt(0) lgkmcnt(0)
	v_mul_f32_e32 v34, v3, v27
	v_fma_f32 v34, v2, v26, -v34
	v_mul_f32_e32 v35, v2, v27
	v_add_co_u32_e32 v2, vcc, s13, v8
	v_fmac_f32_e32 v35, v3, v26
	s_nop 0
	v_addc_co_u32_e32 v3, vcc, 0, v9, vcc
	v_add_co_u32_e32 v26, vcc, s20, v8
	s_nop 1
	v_addc_co_u32_e32 v27, vcc, 0, v9, vcc
	global_load_dwordx2 v[36:37], v[26:27], off offset:1920
	global_load_dwordx2 v[38:39], v[2:3], off offset:3200
	;; [unrolled: 1-line block ×3, first 2 shown]
	v_add_co_u32_e32 v8, vcc, s16, v8
	s_waitcnt vmcnt(1)
	v_mul_f32_e32 v2, v5, v39
	v_mul_f32_e32 v43, v4, v39
	v_addc_co_u32_e32 v9, vcc, 0, v9, vcc
	v_fma_f32 v42, v4, v38, -v2
	v_fmac_f32_e32 v43, v5, v38
	global_load_dwordx2 v[38:39], v[8:9], off offset:2560
	global_load_dwordx2 v[44:45], v[8:9], off offset:3712
	;; [unrolled: 1-line block ×3, first 2 shown]
	ds_read2_b64 v[2:5], v220 offset0:64 offset1:208
	global_load_dwordx2 v[8:9], v[8:9], off offset:256
	s_waitcnt vmcnt(3) lgkmcnt(0)
	v_mul_f32_e32 v48, v3, v39
	global_load_dwordx2 v[26:27], v[26:27], off offset:768
	v_fma_f32 v48, v2, v38, -v48
	v_mul_f32_e32 v49, v2, v39
	s_waitcnt vmcnt(3)
	v_mul_f32_e32 v2, v5, v45
	v_mul_f32_e32 v39, v4, v45
	v_fmac_f32_e32 v49, v3, v38
	v_fma_f32 v38, v4, v44, -v2
	v_fmac_f32_e32 v39, v5, v44
	ds_read2_b64 v[2:5], v161 offset0:32 offset1:176
	s_waitcnt lgkmcnt(0)
	v_mul_f32_e32 v44, v3, v123
	v_fma_f32 v44, v2, v122, -v44
	v_mul_f32_e32 v45, v2, v123
	v_mul_f32_e32 v2, v5, v1
	v_mul_f32_e32 v51, v4, v1
	v_fmac_f32_e32 v45, v3, v122
	v_fma_f32 v50, v4, v0, -v2
	v_fmac_f32_e32 v51, v5, v0
	ds_read2_b64 v[0:3], v71 offset0:96 offset1:240
	s_waitcnt lgkmcnt(0)
	v_mul_f32_e32 v4, v1, v13
	v_fma_f32 v4, v0, v12, -v4
	v_mul_f32_e32 v5, v0, v13
	;; [unrolled: 10-line block ×4, first 2 shown]
	v_mul_f32_e32 v0, v3, v41
	v_mul_f32_e32 v29, v2, v41
	v_fmac_f32_e32 v31, v1, v28
	v_fma_f32 v28, v2, v40, -v0
	v_fmac_f32_e32 v29, v3, v40
	ds_read2_b64 v[0:3], v59 offset0:32 offset1:176
	s_waitcnt vmcnt(1) lgkmcnt(0)
	v_mul_f32_e32 v40, v1, v9
	v_fma_f32 v40, v0, v8, -v40
	v_mul_f32_e32 v41, v0, v9
	v_mul_f32_e32 v0, v3, v47
	;; [unrolled: 1-line block ×3, first 2 shown]
	v_fmac_f32_e32 v41, v1, v8
	v_fma_f32 v8, v2, v46, -v0
	v_fmac_f32_e32 v9, v3, v46
	ds_read2_b64 v[0:3], v221 offset0:96 offset1:240
	s_waitcnt vmcnt(0) lgkmcnt(0)
	v_mul_f32_e32 v46, v1, v27
	v_fma_f32 v46, v0, v26, -v46
	v_mul_f32_e32 v47, v0, v27
	v_mul_f32_e32 v0, v3, v37
	v_fmac_f32_e32 v47, v1, v26
	v_fma_f32 v0, v2, v36, -v0
	v_mul_f32_e32 v1, v2, v37
	v_add_u32_e32 v2, 0x400, v216
	ds_write2_b64 v2, v[6:7], v[44:45] offset0:16 offset1:160
	v_accvgpr_read_b32 v2, a31
	ds_write2_b64 v2, v[14:15], v[4:5] offset0:80 offset1:224
	v_accvgpr_read_b32 v2, a32
	;; [unrolled: 2-line block ×4, first 2 shown]
	ds_write2_b64 v2, v[38:39], v[46:47] offset0:80 offset1:224
	v_add_u32_e32 v2, 0xc00, v216
	ds_write2_b64 v2, v[50:51], v[16:17] offset0:48 offset1:192
	v_add_u32_e32 v2, 0x1e00, v216
	;; [unrolled: 2-line block ×4, first 2 shown]
	v_fmac_f32_e32 v1, v3, v36
	ds_write2_b64 v2, v[8:9], v[48:49] offset0:48 offset1:192
	ds_write2_b64 v95, v[20:21], v[30:31] offset0:80 offset1:224
	;; [unrolled: 1-line block ×3, first 2 shown]
	ds_write_b64 v216, v[0:1] offset:26496
	s_waitcnt lgkmcnt(0)
	s_barrier
	ds_read2_b64 v[44:47], v99 offset1:144
	ds_read2_b64 v[40:43], v189 offset1:144
	;; [unrolled: 1-line block ×3, first 2 shown]
	s_waitcnt lgkmcnt(1)
	v_pk_add_f32 v[0:1], v[44:45], v[40:41]
	v_pk_add_f32 v[2:3], v[44:45], v[40:41] neg_lo:[0,1] neg_hi:[0,1]
	s_waitcnt lgkmcnt(0)
	v_pk_fma_f32 v[0:1], v[0:1], 0.5, v[12:13] op_sel_hi:[1,0,1] neg_lo:[1,0,0] neg_hi:[1,0,0]
	v_pk_mul_f32 v[2:3], v[2:3], s[6:7] op_sel_hi:[1,0]
	v_pk_add_f32 v[12:13], v[12:13], v[44:45]
	v_pk_add_f32 v[48:49], v[0:1], v[2:3] op_sel:[0,1] op_sel_hi:[1,0] neg_lo:[0,1] neg_hi:[0,1]
	v_pk_add_f32 v[50:51], v[0:1], v[2:3] op_sel:[0,1] op_sel_hi:[1,0]
	ds_read2_b64 v[0:3], v83 offset0:64 offset1:208
	ds_read2_b64 v[4:7], v220 offset0:64 offset1:208
	;; [unrolled: 1-line block ×3, first 2 shown]
	v_pk_add_f32 v[12:13], v[12:13], v[40:41]
	ds_read2_b64 v[36:39], v161 offset0:32 offset1:176
	ds_read2_b64 v[32:35], v71 offset0:96 offset1:240
	;; [unrolled: 1-line block ×4, first 2 shown]
	s_waitcnt lgkmcnt(5)
	v_pk_add_f32 v[16:17], v[0:1], v[4:5]
	s_waitcnt lgkmcnt(4)
	v_fma_f32 v54, -0.5, v17, v9
	v_pk_add_f32 v[122:123], v[0:1], v[4:5] neg_lo:[0,1] neg_hi:[0,1]
	v_fma_f32 v52, -0.5, v16, v8
	v_fmamk_f32 v16, v122, 0x3f5db3d7, v54
	v_pk_mul_f32 v[16:17], v[16:17], s[2:3] op_sel_hi:[0,1]
	v_fmamk_f32 v18, v123, 0xbf5db3d7, v52
	v_pk_fma_f32 v[200:201], v[18:19], s[8:9], v[16:17] neg_lo:[0,0,1] neg_hi:[0,0,1]
	v_pk_fma_f32 v[16:17], v[18:19], s[8:9], v[16:17] op_sel_hi:[0,1,1]
	v_pk_add_f32 v[0:1], v[8:9], v[0:1]
	v_mov_b32_e32 v201, v17
	v_pk_add_f32 v[0:1], v[0:1], v[4:5]
	v_mov_b32_e32 v4, v48
	v_mov_b32_e32 v5, v51
	v_fmac_f32_e32 v54, 0xbf5db3d7, v122
	v_pk_add_f32 v[188:189], v[12:13], v[0:1]
	v_pk_add_f32 v[190:191], v[4:5], v[200:201]
	v_fmac_f32_e32 v52, 0x3f5db3d7, v123
	v_pk_mul_f32 v[8:9], v[54:55], s[2:3] op_sel_hi:[0,1]
	ds_read2_b64 v[16:19], v59 offset0:32 offset1:176
	ds_read2_b64 v[24:27], v221 offset0:96 offset1:240
	s_waitcnt lgkmcnt(0)
	s_barrier
	ds_write_b128 v193, v[188:191]
	v_pk_fma_f32 v[8:9], v[52:53], s[10:11], v[8:9] op_sel_hi:[0,1,1] neg_lo:[0,0,1] neg_hi:[0,0,1]
	v_mov_b32_e32 v51, v49
	v_pk_add_f32 v[190:191], v[12:13], v[0:1] neg_lo:[0,1] neg_hi:[0,1]
	v_pk_add_f32 v[0:1], v[14:15], v[46:47]
	v_pk_add_f32 v[188:189], v[50:51], v[8:9]
	;; [unrolled: 1-line block ×4, first 2 shown]
	v_pk_add_f32 v[40:41], v[2:3], v[6:7] neg_lo:[0,1] neg_hi:[0,1]
	v_pk_add_f32 v[2:3], v[10:11], v[2:3]
	ds_write_b128 v193, v[188:191] offset:16
	v_pk_add_f32 v[188:189], v[4:5], v[200:201] neg_lo:[0,1] neg_hi:[0,1]
	v_pk_add_f32 v[190:191], v[50:51], v[8:9] neg_lo:[0,1] neg_hi:[0,1]
	v_pk_add_f32 v[4:5], v[46:47], v[42:43]
	v_pk_add_f32 v[8:9], v[46:47], v[42:43] neg_lo:[0,1] neg_hi:[0,1]
	v_pk_add_f32 v[6:7], v[2:3], v[6:7]
	v_fma_f32 v2, -0.5, v1, v11
	v_fma_f32 v0, -0.5, v0, v10
	v_pk_fma_f32 v[4:5], v[4:5], 0.5, v[14:15] op_sel_hi:[1,0,1] neg_lo:[1,0,0] neg_hi:[1,0,0]
	v_fmamk_f32 v14, v40, 0x3f5db3d7, v2
	v_pk_mul_f32 v[8:9], v[8:9], s[6:7] op_sel_hi:[1,0]
	v_fmamk_f32 v10, v41, 0xbf5db3d7, v0
	v_fmac_f32_e32 v0, 0x3f5db3d7, v41
	v_fmac_f32_e32 v2, 0xbf5db3d7, v40
	v_pk_add_f32 v[40:41], v[4:5], v[8:9] op_sel:[0,1] op_sel_hi:[1,0] neg_lo:[0,1] neg_hi:[0,1]
	v_pk_add_f32 v[42:43], v[4:5], v[8:9] op_sel:[0,1] op_sel_hi:[1,0]
	v_pk_mul_f32 v[4:5], v[14:15], s[2:3] op_sel_hi:[0,1]
	v_pk_fma_f32 v[8:9], v[10:11], s[8:9], v[4:5] neg_lo:[0,0,1] neg_hi:[0,0,1]
	v_pk_fma_f32 v[4:5], v[10:11], s[8:9], v[4:5] op_sel_hi:[0,1,1]
	v_mov_b32_e32 v9, v5
	v_pk_mul_f32 v[2:3], v[2:3], s[2:3] op_sel_hi:[0,1]
	v_mov_b32_e32 v14, v40
	v_mov_b32_e32 v15, v43
	v_pk_fma_f32 v[10:11], v[0:1], s[10:11], v[2:3] op_sel_hi:[0,1,1] neg_lo:[0,0,1] neg_hi:[0,0,1]
	v_mov_b32_e32 v43, v41
	v_pk_add_f32 v[0:1], v[12:13], v[6:7]
	v_pk_add_f32 v[2:3], v[14:15], v[8:9]
	ds_write_b128 v193, v[188:191] offset:32
	v_pk_add_f32 v[6:7], v[12:13], v[6:7] neg_lo:[0,1] neg_hi:[0,1]
	v_pk_add_f32 v[4:5], v[42:43], v[10:11]
	v_pk_add_f32 v[8:9], v[14:15], v[8:9] neg_lo:[0,1] neg_hi:[0,1]
	v_pk_add_f32 v[10:11], v[42:43], v[10:11] neg_lo:[0,1] neg_hi:[0,1]
	ds_write_b128 v195, v[0:3]
	ds_write_b128 v195, v[4:7] offset:16
	ds_write_b128 v195, v[8:11] offset:32
	v_pk_add_f32 v[0:1], v[28:29], v[24:25]
	v_pk_add_f32 v[2:3], v[28:29], v[24:25] neg_lo:[0,1] neg_hi:[0,1]
	v_fma_f32 v0, -0.5, v0, v32
	v_fma_f32 v6, -0.5, v1, v33
	v_fmamk_f32 v4, v3, 0xbf5db3d7, v0
	v_fmac_f32_e32 v0, 0x3f5db3d7, v3
	v_fmamk_f32 v8, v2, 0x3f5db3d7, v6
	v_fmac_f32_e32 v6, 0xbf5db3d7, v2
	v_pk_add_f32 v[2:3], v[20:21], v[16:17]
	v_pk_add_f32 v[10:11], v[20:21], v[16:17] neg_lo:[0,1] neg_hi:[0,1]
	v_pk_fma_f32 v[2:3], v[2:3], 0.5, v[36:37] op_sel_hi:[1,0,1] neg_lo:[1,0,0] neg_hi:[1,0,0]
	v_pk_mul_f32 v[10:11], v[10:11], s[6:7] op_sel_hi:[1,0]
	s_nop 0
	v_pk_add_f32 v[12:13], v[2:3], v[10:11] op_sel:[0,1] op_sel_hi:[1,0] neg_lo:[0,1] neg_hi:[0,1]
	v_pk_add_f32 v[10:11], v[2:3], v[10:11] op_sel:[0,1] op_sel_hi:[1,0]
	v_pk_mul_f32 v[2:3], v[8:9], s[2:3] op_sel_hi:[0,1]
	v_pk_fma_f32 v[8:9], v[4:5], s[8:9], v[2:3] neg_lo:[0,0,1] neg_hi:[0,0,1]
	v_pk_fma_f32 v[2:3], v[4:5], s[8:9], v[2:3] op_sel_hi:[0,1,1]
	v_mov_b32_e32 v9, v3
	v_pk_mul_f32 v[2:3], v[6:7], s[2:3] op_sel_hi:[0,1]
	v_pk_fma_f32 v[14:15], v[0:1], s[10:11], v[2:3] op_sel_hi:[0,1,1] neg_lo:[0,0,1] neg_hi:[0,0,1]
	v_pk_add_f32 v[0:1], v[36:37], v[20:21]
	v_mov_b32_e32 v40, v12
	v_pk_add_f32 v[4:5], v[0:1], v[16:17]
	v_pk_add_f32 v[0:1], v[32:33], v[28:29]
	v_mov_b32_e32 v41, v11
	v_pk_add_f32 v[6:7], v[0:1], v[24:25]
	v_mov_b32_e32 v11, v13
	v_pk_add_f32 v[0:1], v[4:5], v[6:7]
	v_pk_add_f32 v[2:3], v[40:41], v[8:9]
	v_pk_add_f32 v[6:7], v[4:5], v[6:7] neg_lo:[0,1] neg_hi:[0,1]
	v_pk_add_f32 v[4:5], v[10:11], v[14:15]
	v_pk_add_f32 v[8:9], v[40:41], v[8:9] neg_lo:[0,1] neg_hi:[0,1]
	v_pk_add_f32 v[10:11], v[10:11], v[14:15] neg_lo:[0,1] neg_hi:[0,1]
	ds_write_b128 v121, v[0:3]
	ds_write_b128 v121, v[4:7] offset:16
	ds_write_b128 v121, v[8:11] offset:32
	v_pk_add_f32 v[0:1], v[38:39], v[22:23]
	v_pk_add_f32 v[2:3], v[22:23], v[18:19]
	v_pk_add_f32 v[4:5], v[22:23], v[18:19] neg_lo:[0,1] neg_hi:[0,1]
	v_pk_add_f32 v[6:7], v[0:1], v[18:19]
	v_pk_add_f32 v[0:1], v[30:31], v[26:27]
	v_pk_add_f32 v[8:9], v[30:31], v[26:27] neg_lo:[0,1] neg_hi:[0,1]
	v_fma_f32 v12, -0.5, v0, v34
	v_fma_f32 v14, -0.5, v1, v35
	v_pk_fma_f32 v[0:1], v[2:3], 0.5, v[38:39] op_sel_hi:[1,0,1] neg_lo:[1,0,0] neg_hi:[1,0,0]
	v_pk_mul_f32 v[2:3], v[4:5], s[6:7] op_sel_hi:[1,0]
	v_pk_add_f32 v[10:11], v[34:35], v[30:31]
	v_pk_add_f32 v[4:5], v[0:1], v[2:3] op_sel:[0,1] op_sel_hi:[1,0] neg_lo:[0,1] neg_hi:[0,1]
	v_pk_add_f32 v[16:17], v[0:1], v[2:3] op_sel:[0,1] op_sel_hi:[1,0]
	v_fmamk_f32 v0, v8, 0x3f5db3d7, v14
	v_pk_mul_f32 v[0:1], v[0:1], s[2:3] op_sel_hi:[0,1]
	v_fmamk_f32 v2, v9, 0xbf5db3d7, v12
	v_pk_fma_f32 v[18:19], v[2:3], s[8:9], v[0:1] neg_lo:[0,0,1] neg_hi:[0,0,1]
	v_pk_fma_f32 v[0:1], v[2:3], s[8:9], v[0:1] op_sel_hi:[0,1,1]
	v_pk_add_f32 v[10:11], v[10:11], v[26:27]
	v_mov_b32_e32 v19, v1
	v_mov_b32_e32 v20, v4
	;; [unrolled: 1-line block ×3, first 2 shown]
	v_pk_add_f32 v[0:1], v[6:7], v[10:11]
	v_pk_add_f32 v[2:3], v[20:21], v[18:19]
	v_fmac_f32_e32 v14, 0xbf5db3d7, v8
	ds_write_b128 v192, v[0:3]
	v_fmac_f32_e32 v12, 0x3f5db3d7, v9
	v_pk_mul_f32 v[0:1], v[14:15], s[2:3] op_sel_hi:[0,1]
	v_pk_fma_f32 v[8:9], v[12:13], s[10:11], v[0:1] op_sel_hi:[0,1,1] neg_lo:[0,0,1] neg_hi:[0,0,1]
	v_mov_b32_e32 v17, v5
	v_pk_add_f32 v[2:3], v[6:7], v[10:11] neg_lo:[0,1] neg_hi:[0,1]
	v_pk_add_f32 v[0:1], v[16:17], v[8:9]
	ds_write_b128 v192, v[0:3] offset:16
	v_pk_add_f32 v[0:1], v[20:21], v[18:19] neg_lo:[0,1] neg_hi:[0,1]
	v_pk_add_f32 v[2:3], v[16:17], v[8:9] neg_lo:[0,1] neg_hi:[0,1]
	ds_write_b128 v192, v[0:3] offset:32
	s_waitcnt lgkmcnt(0)
	s_barrier
	ds_read2_b64 v[2:5], v246 offset0:32 offset1:176
	ds_read2_b64 v[8:11], v71 offset0:96 offset1:240
	;; [unrolled: 1-line block ×4, first 2 shown]
	s_waitcnt lgkmcnt(3)
	v_pk_mul_f32 v[0:1], v[194:195], v[4:5] op_sel_hi:[0,1]
	v_pk_fma_f32 v[194:195], v[158:159], v[4:5], v[0:1] op_sel:[0,0,1] op_sel_hi:[1,1,0]
	v_pk_fma_f32 v[16:17], v[158:159], v[4:5], v[0:1] op_sel:[0,0,1] op_sel_hi:[0,1,0] neg_lo:[0,0,1] neg_hi:[0,0,1]
	s_waitcnt lgkmcnt(2)
	v_pk_mul_f32 v[4:5], v[156:157], v[10:11] op_sel:[1,0]
	v_mov_b32_e32 v195, v17
	v_pk_fma_f32 v[0:1], v[156:157], v[10:11], v[4:5] op_sel:[0,0,1] op_sel_hi:[0,1,0]
	v_pk_fma_f32 v[4:5], v[156:157], v[10:11], v[4:5] op_sel:[0,0,1] op_sel_hi:[0,1,0] neg_lo:[0,0,1] neg_hi:[0,0,1]
	v_mov_b32_e32 v4, v183
	v_pk_mul_f32 v[6:7], v[4:5], v[2:3] op_sel_hi:[0,1]
	v_pk_fma_f32 v[192:193], v[182:183], v[2:3], v[6:7] op_sel:[0,0,1] op_sel_hi:[1,1,0]
	v_pk_fma_f32 v[6:7], v[182:183], v[2:3], v[6:7] op_sel:[0,0,1] op_sel_hi:[0,1,0] neg_lo:[0,0,1] neg_hi:[0,0,1]
	v_pk_mul_f32 v[2:3], v[180:181], v[8:9] op_sel:[1,0]
	v_mov_b32_e32 v193, v7
	v_pk_fma_f32 v[188:189], v[180:181], v[8:9], v[2:3] op_sel:[0,0,1] op_sel_hi:[0,1,0]
	v_pk_fma_f32 v[182:183], v[180:181], v[8:9], v[2:3] op_sel:[0,0,1] op_sel_hi:[0,1,0] neg_lo:[0,0,1] neg_hi:[0,0,1]
	v_mov_b32_e32 v2, v155
	s_waitcnt lgkmcnt(1)
	v_pk_mul_f32 v[2:3], v[2:3], v[14:15] op_sel_hi:[0,1]
	v_pk_fma_f32 v[122:123], v[154:155], v[14:15], v[2:3] op_sel:[0,0,1] op_sel_hi:[1,1,0]
	v_pk_fma_f32 v[180:181], v[154:155], v[14:15], v[2:3] op_sel:[0,0,1] op_sel_hi:[0,1,0] neg_lo:[0,0,1] neg_hi:[0,0,1]
	s_waitcnt lgkmcnt(0)
	v_pk_mul_f32 v[2:3], v[152:153], v[20:21] op_sel:[1,0]
	v_mov_b32_e32 v189, v183
	v_pk_fma_f32 v[10:11], v[152:153], v[20:21], v[2:3] op_sel:[0,0,1] op_sel_hi:[1,1,0]
	v_pk_fma_f32 v[8:9], v[152:153], v[20:21], v[2:3] op_sel:[0,0,1] op_sel_hi:[0,1,0] neg_lo:[0,0,1] neg_hi:[0,0,1]
	v_mov_b32_e32 v2, v151
	v_pk_mul_f32 v[2:3], v[2:3], v[12:13] op_sel_hi:[0,1]
	v_pk_fma_f32 v[190:191], v[150:151], v[12:13], v[2:3] op_sel:[0,0,1] op_sel_hi:[1,1,0]
	v_pk_fma_f32 v[2:3], v[150:151], v[12:13], v[2:3] op_sel:[0,0,1] op_sel_hi:[0,1,0] neg_lo:[0,0,1] neg_hi:[0,0,1]
	v_pk_mul_f32 v[12:13], v[148:149], v[18:19] op_sel:[1,0]
	v_accvgpr_read_b32 v2, a40
	v_pk_fma_f32 v[14:15], v[148:149], v[18:19], v[12:13] op_sel:[0,0,1] op_sel_hi:[1,1,0]
	v_pk_fma_f32 v[12:13], v[148:149], v[18:19], v[12:13] op_sel:[0,0,1] op_sel_hi:[0,1,0] neg_lo:[0,0,1] neg_hi:[0,0,1]
	ds_read2_b64 v[18:21], v99 offset1:144
	v_mov_b32_e32 v191, v3
	v_mov_b32_e32 v15, v13
	;; [unrolled: 1-line block ×3, first 2 shown]
	s_waitcnt lgkmcnt(0)
	v_pk_mul_f32 v[22:23], v[2:3], v[20:21] op_sel_hi:[0,1]
	v_pk_fma_f32 v[26:27], v[244:245], v[20:21], v[22:23] op_sel:[0,0,1] op_sel_hi:[1,1,0]
	v_pk_fma_f32 v[28:29], v[244:245], v[20:21], v[22:23] op_sel:[0,0,1] op_sel_hi:[0,1,0] neg_lo:[0,0,1] neg_hi:[0,0,1]
	ds_read2_b64 v[20:23], v63 offset0:64 offset1:208
	v_accvgpr_read_b32 v2, a36
	v_mov_b32_e32 v27, v29
	s_waitcnt lgkmcnt(0)
	v_pk_mul_f32 v[24:25], v[242:243], v[22:23] op_sel:[1,0]
	s_nop 0
	v_pk_fma_f32 v[30:31], v[242:243], v[22:23], v[24:25] op_sel:[0,0,1] op_sel_hi:[0,1,0]
	v_pk_fma_f32 v[32:33], v[242:243], v[22:23], v[24:25] op_sel:[0,0,1] op_sel_hi:[0,1,0] neg_lo:[0,0,1] neg_hi:[0,0,1]
	v_pk_mul_f32 v[22:23], v[230:231], v[20:21] op_sel:[1,0]
	v_mov_b32_e32 v31, v33
	v_pk_fma_f32 v[24:25], v[230:231], v[20:21], v[22:23] op_sel:[0,0,1] op_sel_hi:[0,1,0]
	v_pk_fma_f32 v[34:35], v[230:231], v[20:21], v[22:23] op_sel:[0,0,1] op_sel_hi:[0,1,0] neg_lo:[0,0,1] neg_hi:[0,0,1]
	v_pk_mul_f32 v[20:21], v[2:3], v[18:19] op_sel_hi:[0,1]
	v_pk_fma_f32 v[36:37], v[232:233], v[18:19], v[20:21] op_sel:[0,0,1] op_sel_hi:[1,1,0]
	v_pk_fma_f32 v[38:39], v[232:233], v[18:19], v[20:21] op_sel:[0,0,1] op_sel_hi:[0,1,0] neg_lo:[0,0,1] neg_hi:[0,0,1]
	ds_read2_b64 v[18:21], v91 offset1:144
	v_accvgpr_read_b32 v2, a38
	v_mov_b32_e32 v25, v35
	v_mov_b32_e32 v37, v39
	s_waitcnt lgkmcnt(0)
	v_pk_mul_f32 v[22:23], v[2:3], v[20:21] op_sel_hi:[0,1]
	v_pk_fma_f32 v[40:41], v[146:147], v[20:21], v[22:23] op_sel:[0,0,1] op_sel_hi:[1,1,0]
	v_pk_fma_f32 v[42:43], v[146:147], v[20:21], v[22:23] op_sel:[0,0,1] op_sel_hi:[0,1,0] neg_lo:[0,0,1] neg_hi:[0,0,1]
	ds_read2_b64 v[20:23], v83 offset0:64 offset1:208
	v_accvgpr_read_b32 v2, a42
	v_mov_b32_e32 v41, v43
	s_waitcnt lgkmcnt(0)
	v_pk_mul_f32 v[44:45], v[144:145], v[22:23] op_sel:[1,0]
	s_nop 0
	v_pk_fma_f32 v[46:47], v[144:145], v[22:23], v[44:45] op_sel:[0,0,1] op_sel_hi:[1,1,0]
	v_pk_fma_f32 v[44:45], v[144:145], v[22:23], v[44:45] op_sel:[0,0,1] op_sel_hi:[0,1,0] neg_lo:[0,0,1] neg_hi:[0,0,1]
	v_pk_mul_f32 v[22:23], v[140:141], v[20:21] op_sel:[1,0]
	v_mov_b32_e32 v47, v45
	v_pk_fma_f32 v[48:49], v[140:141], v[20:21], v[22:23] op_sel:[0,0,1] op_sel_hi:[1,1,0]
	v_pk_fma_f32 v[22:23], v[140:141], v[20:21], v[22:23] op_sel:[0,0,1] op_sel_hi:[0,1,0] neg_lo:[0,0,1] neg_hi:[0,0,1]
	v_pk_mul_f32 v[20:21], v[2:3], v[18:19] op_sel_hi:[0,1]
	v_pk_fma_f32 v[50:51], v[142:143], v[18:19], v[20:21] op_sel:[0,0,1] op_sel_hi:[1,1,0]
	v_pk_fma_f32 v[52:53], v[142:143], v[18:19], v[20:21] op_sel:[0,0,1] op_sel_hi:[0,1,0] neg_lo:[0,0,1] neg_hi:[0,0,1]
	ds_read2_b64 v[18:21], v221 offset0:96 offset1:240
	v_mov_b32_e32 v49, v23
	v_mov_b32_e32 v2, v24
	;; [unrolled: 1-line block ×3, first 2 shown]
	s_waitcnt lgkmcnt(0)
	v_pk_mul_f32 v[54:55], v[170:171], v[20:21] op_sel:[1,0]
	s_nop 0
	v_pk_fma_f32 v[140:141], v[170:171], v[20:21], v[54:55] op_sel:[0,0,1] op_sel_hi:[1,1,0]
	v_pk_fma_f32 v[54:55], v[170:171], v[20:21], v[54:55] op_sel:[0,0,1] op_sel_hi:[0,1,0] neg_lo:[0,0,1] neg_hi:[0,0,1]
	v_pk_mul_f32 v[20:21], v[168:169], v[18:19] op_sel:[1,0]
	v_mov_b32_e32 v141, v55
	v_pk_fma_f32 v[144:145], v[168:169], v[18:19], v[20:21] op_sel:[0,0,1] op_sel_hi:[1,1,0]
	v_pk_fma_f32 v[148:149], v[168:169], v[18:19], v[20:21] op_sel:[0,0,1] op_sel_hi:[0,1,0] neg_lo:[0,0,1] neg_hi:[0,0,1]
	ds_read2_b64 v[18:21], v220 offset0:64 offset1:208
	v_mov_b32_e32 v145, v149
	v_pk_add_f32 v[12:13], v[14:15], v[144:145] neg_lo:[0,1] neg_hi:[0,1]
	s_waitcnt lgkmcnt(0)
	v_pk_mul_f32 v[150:151], v[172:173], v[20:21] op_sel:[1,0]
	s_nop 0
	v_pk_fma_f32 v[152:153], v[172:173], v[20:21], v[150:151] op_sel:[0,0,1] op_sel_hi:[1,1,0]
	v_pk_fma_f32 v[150:151], v[172:173], v[20:21], v[150:151] op_sel:[0,0,1] op_sel_hi:[0,1,0] neg_lo:[0,0,1] neg_hi:[0,0,1]
	v_pk_mul_f32 v[20:21], v[174:175], v[18:19] op_sel:[1,0]
	v_mov_b32_e32 v153, v151
	v_pk_fma_f32 v[154:155], v[174:175], v[18:19], v[20:21] op_sel:[0,0,1] op_sel_hi:[1,1,0]
	v_pk_fma_f32 v[18:19], v[174:175], v[18:19], v[20:21] op_sel:[0,0,1] op_sel_hi:[0,1,0] neg_lo:[0,0,1] neg_hi:[0,0,1]
	v_mov_b32_e32 v155, v19
	v_pk_add_f32 v[18:19], v[48:49], v[154:155]
	v_pk_add_f32 v[20:21], v[24:25], v[48:49]
	v_pk_add_f32 v[38:39], v[48:49], v[154:155] neg_lo:[0,1] neg_hi:[0,1]
	v_pk_add_f32 v[48:49], v[20:21], v[154:155]
	v_fmac_f32_e32 v2, -0.5, v18
	v_fmac_f32_e32 v35, -0.5, v19
	ds_read2_b64 v[18:21], v216 offset1:144
	v_pk_add_f32 v[24:25], v[36:37], v[50:51] neg_lo:[0,1] neg_hi:[0,1]
	v_fmamk_f32 v4, v38, 0x3f5db3d7, v35
	v_fmac_f32_e32 v35, 0xbf5db3d7, v38
	s_waitcnt lgkmcnt(0)
	v_pk_add_f32 v[22:23], v[18:19], v[36:37]
	s_nop 0
	v_pk_add_f32 v[52:53], v[22:23], v[50:51]
	v_pk_add_f32 v[22:23], v[36:37], v[50:51]
	;; [unrolled: 1-line block ×3, first 2 shown]
	v_pk_fma_f32 v[18:19], v[22:23], 0.5, v[18:19] op_sel_hi:[1,0,1] neg_lo:[1,0,0] neg_hi:[1,0,0]
	v_pk_mul_f32 v[22:23], v[24:25], s[6:7] op_sel_hi:[1,0]
	s_nop 0
	v_pk_add_f32 v[36:37], v[18:19], v[22:23] op_sel:[0,1] op_sel_hi:[1,0] neg_lo:[0,1] neg_hi:[0,1]
	v_pk_add_f32 v[18:19], v[18:19], v[22:23] op_sel:[0,1] op_sel_hi:[1,0]
	v_pk_mul_f32 v[22:23], v[4:5], s[2:3] op_sel_hi:[0,1]
	v_fmamk_f32 v4, v39, 0xbf5db3d7, v2
	v_pk_fma_f32 v[50:51], v[4:5], s[8:9], v[22:23] neg_lo:[0,0,1] neg_hi:[0,0,1]
	v_pk_fma_f32 v[22:23], v[4:5], s[8:9], v[22:23] op_sel_hi:[0,1,1]
	v_mov_b32_e32 v4, v35
	v_fmac_f32_e32 v2, 0x3f5db3d7, v39
	v_pk_mul_f32 v[34:35], v[4:5], s[2:3] op_sel_hi:[0,1]
	v_mov_b32_e32 v155, v19
	v_pk_fma_f32 v[34:35], v[2:3], s[10:11], v[34:35] op_sel_hi:[0,1,1] neg_lo:[0,0,1] neg_hi:[0,0,1]
	v_mov_b32_e32 v19, v37
	v_mov_b32_e32 v51, v23
	;; [unrolled: 1-line block ×3, first 2 shown]
	v_pk_add_f32 v[36:37], v[52:53], v[48:49] neg_lo:[0,1] neg_hi:[0,1]
	v_pk_add_f32 v[38:39], v[18:19], v[34:35]
	ds_read2_b64 v[22:25], v161 offset0:32 offset1:176
	s_waitcnt lgkmcnt(0)
	s_barrier
	ds_write2_b64 v143, v[38:39], v[36:37] offset0:12 offset1:18
	v_pk_add_f32 v[36:37], v[154:155], v[50:51] neg_lo:[0,1] neg_hi:[0,1]
	v_pk_add_f32 v[18:19], v[18:19], v[34:35] neg_lo:[0,1] neg_hi:[0,1]
	ds_write2_b64 v143, v[36:37], v[18:19] offset0:24 offset1:30
	v_pk_add_f32 v[18:19], v[26:27], v[40:41]
	v_pk_add_f32 v[34:35], v[46:47], v[152:153] neg_lo:[0,1] neg_hi:[0,1]
	v_pk_fma_f32 v[18:19], v[18:19], 0.5, v[20:21] op_sel_hi:[1,0,1] neg_lo:[1,0,0] neg_hi:[1,0,0]
	v_pk_add_f32 v[20:21], v[20:21], v[26:27]
	v_pk_add_f32 v[26:27], v[26:27], v[40:41] neg_lo:[0,1] neg_hi:[0,1]
	v_pk_add_f32 v[36:37], v[30:31], v[46:47]
	v_pk_mul_f32 v[26:27], v[26:27], s[6:7] op_sel_hi:[1,0]
	v_pk_add_f32 v[36:37], v[36:37], v[152:153]
	v_pk_add_f32 v[28:29], v[18:19], v[26:27] op_sel:[0,1] op_sel_hi:[1,0] neg_lo:[0,1] neg_hi:[0,1]
	v_pk_add_f32 v[18:19], v[26:27], v[18:19] op_sel:[1,0] op_sel_hi:[0,1]
	v_pk_add_f32 v[26:27], v[46:47], v[152:153]
	v_pk_add_f32 v[20:21], v[20:21], v[40:41]
	v_fmac_f32_e32 v33, -0.5, v27
	v_fmac_f32_e32 v30, -0.5, v26
	v_fmamk_f32 v2, v34, 0x3f5db3d7, v33
	v_fmamk_f32 v1, v35, 0xbf5db3d7, v30
	v_mul_f32_e32 v4, 0xbf5db3d7, v2
	v_mul_f32_e32 v6, 0.5, v2
	v_fmac_f32_e32 v4, 0.5, v1
	v_fmac_f32_e32 v6, 0x3f5db3d7, v1
	v_fmac_f32_e32 v33, 0xbf5db3d7, v34
	v_pk_add_f32 v[168:169], v[154:155], v[50:51]
	v_add_f32_e32 v26, v28, v4
	v_add_f32_e32 v27, v19, v6
	v_pk_add_f32 v[38:39], v[20:21], v[36:37]
	v_mov_b32_e32 v2, v33
	ds_write2_b64 v143, v[156:157], v[168:169] offset1:6
	ds_write2_b64 v147, v[38:39], v[26:27] offset1:6
	v_fmac_f32_e32 v30, 0x3f5db3d7, v35
	v_pk_mul_f32 v[26:27], v[2:3], s[2:3] op_sel_hi:[0,1]
	v_pk_fma_f32 v[26:27], v[30:31], s[10:11], v[26:27] op_sel_hi:[0,1,1] neg_lo:[0,0,1] neg_hi:[0,0,1]
	v_mov_b32_e32 v30, v18
	v_mov_b32_e32 v31, v29
	v_pk_add_f32 v[20:21], v[20:21], v[36:37] neg_lo:[0,1] neg_hi:[0,1]
	v_pk_add_f32 v[32:33], v[30:31], v[26:27]
	v_sub_f32_e32 v19, v19, v6
	v_pk_add_f32 v[2:3], v[192:193], v[190:191]
	v_pk_add_f32 v[6:7], v[192:193], v[190:191] neg_lo:[0,1] neg_hi:[0,1]
	ds_write2_b64 v147, v[32:33], v[20:21] offset0:12 offset1:18
	v_sub_f32_e32 v18, v28, v4
	v_pk_add_f32 v[20:21], v[30:31], v[26:27] neg_lo:[0,1] neg_hi:[0,1]
	v_pk_fma_f32 v[2:3], v[2:3], 0.5, v[22:23] op_sel_hi:[1,0,1] neg_lo:[1,0,0] neg_hi:[1,0,0]
	v_pk_mul_f32 v[6:7], v[6:7], s[6:7] op_sel_hi:[1,0]
	ds_write2_b64 v147, v[18:19], v[20:21] offset0:24 offset1:30
	v_pk_add_f32 v[18:19], v[2:3], v[6:7] op_sel:[0,1] op_sel_hi:[1,0] neg_lo:[0,1] neg_hi:[0,1]
	v_pk_add_f32 v[2:3], v[6:7], v[2:3] op_sel:[1,0] op_sel_hi:[0,1]
	v_pk_add_f32 v[6:7], v[14:15], v[144:145]
	v_pk_add_f32 v[14:15], v[188:189], v[14:15]
	v_fmac_f32_e32 v183, -0.5, v7
	v_fmac_f32_e32 v188, -0.5, v6
	v_fmamk_f32 v4, v12, 0x3f5db3d7, v183
	v_fmac_f32_e32 v183, 0xbf5db3d7, v12
	v_pk_add_f32 v[6:7], v[22:23], v[192:193]
	v_fmamk_f32 v1, v13, 0xbf5db3d7, v188
	v_mul_f32_e32 v8, 0xbf5db3d7, v4
	v_mul_f32_e32 v11, 0.5, v4
	v_mov_b32_e32 v4, v183
	v_pk_add_f32 v[14:15], v[14:15], v[144:145]
	v_pk_add_f32 v[6:7], v[6:7], v[190:191]
	v_fmac_f32_e32 v8, 0.5, v1
	v_fmac_f32_e32 v11, 0x3f5db3d7, v1
	v_fmac_f32_e32 v188, 0x3f5db3d7, v13
	v_pk_mul_f32 v[12:13], v[4:5], s[2:3] op_sel_hi:[0,1]
	v_add_f32_e32 v20, v18, v8
	v_add_f32_e32 v21, v3, v11
	v_pk_add_f32 v[22:23], v[6:7], v[14:15]
	v_pk_fma_f32 v[12:13], v[188:189], s[10:11], v[12:13] op_sel_hi:[0,1,1] neg_lo:[0,0,1] neg_hi:[0,0,1]
	v_pk_add_f32 v[6:7], v[6:7], v[14:15] neg_lo:[0,1] neg_hi:[0,1]
	v_mov_b32_e32 v14, v2
	v_mov_b32_e32 v15, v19
	ds_write2_b64 v233, v[22:23], v[20:21] offset1:6
	v_pk_add_f32 v[20:21], v[14:15], v[12:13]
	ds_write2_b64 v233, v[20:21], v[6:7] offset0:12 offset1:18
	v_sub_f32_e32 v2, v18, v8
	v_sub_f32_e32 v3, v3, v11
	v_pk_add_f32 v[6:7], v[14:15], v[12:13] neg_lo:[0,1] neg_hi:[0,1]
	ds_write2_b64 v233, v[2:3], v[6:7] offset0:24 offset1:30
	v_pk_add_f32 v[2:3], v[194:195], v[122:123]
	v_pk_add_f32 v[12:13], v[194:195], v[122:123] neg_lo:[0,1] neg_hi:[0,1]
	v_mov_b32_e32 v11, v9
	v_pk_fma_f32 v[2:3], v[2:3], 0.5, v[24:25] op_sel_hi:[1,0,1] neg_lo:[1,0,0] neg_hi:[1,0,0]
	v_pk_mul_f32 v[12:13], v[12:13], s[6:7] op_sel_hi:[1,0]
	v_pk_add_f32 v[8:9], v[10:11], v[140:141]
	v_pk_add_f32 v[14:15], v[2:3], v[12:13] op_sel:[0,1] op_sel_hi:[1,0] neg_lo:[0,1] neg_hi:[0,1]
	v_pk_add_f32 v[2:3], v[12:13], v[2:3] op_sel:[1,0] op_sel_hi:[0,1]
	v_mov_b32_e32 v1, v5
	v_pk_add_f32 v[12:13], v[10:11], v[140:141] neg_lo:[0,1] neg_hi:[0,1]
	v_fmac_f32_e32 v5, -0.5, v9
	v_pk_add_f32 v[10:11], v[0:1], v[10:11]
	v_fmac_f32_e32 v0, -0.5, v8
	v_fmamk_f32 v4, v12, 0x3f5db3d7, v5
	v_fmac_f32_e32 v5, 0xbf5db3d7, v12
	v_pk_add_f32 v[6:7], v[24:25], v[194:195]
	v_fmamk_f32 v1, v13, 0xbf5db3d7, v0
	v_mul_f32_e32 v18, 0xbf5db3d7, v4
	v_mul_f32_e32 v19, 0.5, v4
	v_mov_b32_e32 v4, v5
	v_pk_add_f32 v[10:11], v[10:11], v[140:141]
	v_pk_add_f32 v[6:7], v[6:7], v[122:123]
	v_fmac_f32_e32 v18, 0.5, v1
	v_fmac_f32_e32 v19, 0x3f5db3d7, v1
	v_fmac_f32_e32 v0, 0x3f5db3d7, v13
	v_pk_mul_f32 v[4:5], v[4:5], s[2:3] op_sel_hi:[0,1]
	v_add_f32_e32 v8, v14, v18
	v_add_f32_e32 v9, v3, v19
	v_pk_add_f32 v[16:17], v[6:7], v[10:11]
	v_pk_fma_f32 v[0:1], v[0:1], s[10:11], v[4:5] op_sel_hi:[0,1,1] neg_lo:[0,0,1] neg_hi:[0,0,1]
	v_pk_add_f32 v[4:5], v[6:7], v[10:11] neg_lo:[0,1] neg_hi:[0,1]
	v_mov_b32_e32 v6, v2
	v_mov_b32_e32 v7, v15
	ds_write2_b64 v245, v[16:17], v[8:9] offset1:6
	v_pk_add_f32 v[8:9], v[6:7], v[0:1]
	v_sub_f32_e32 v2, v14, v18
	v_sub_f32_e32 v3, v3, v19
	v_pk_add_f32 v[0:1], v[6:7], v[0:1] neg_lo:[0,1] neg_hi:[0,1]
	ds_write2_b64 v245, v[8:9], v[4:5] offset0:12 offset1:18
	ds_write2_b64 v245, v[2:3], v[0:1] offset0:24 offset1:30
	s_waitcnt lgkmcnt(0)
	s_barrier
	ds_read2_b64 v[8:11], v246 offset0:32 offset1:176
	ds_read2_b64 v[12:15], v71 offset0:96 offset1:240
	v_accvgpr_read_b32 v0, a60
	ds_read2_b64 v[26:29], v59 offset0:32 offset1:176
	s_waitcnt lgkmcnt(2)
	v_pk_mul_f32 v[0:1], v[0:1], v[10:11] op_sel_hi:[0,1]
	v_pk_fma_f32 v[4:5], v[134:135], v[10:11], v[0:1] op_sel:[0,0,1] op_sel_hi:[1,1,0]
	v_pk_fma_f32 v[6:7], v[134:135], v[10:11], v[0:1] op_sel:[0,0,1] op_sel_hi:[0,1,0] neg_lo:[0,0,1] neg_hi:[0,0,1]
	s_waitcnt lgkmcnt(1)
	v_pk_mul_f32 v[0:1], v[132:133], v[14:15] op_sel:[1,0]
	s_nop 0
	v_pk_fma_f32 v[2:3], v[132:133], v[14:15], v[0:1] op_sel:[0,0,1] op_sel_hi:[0,1,0]
	v_pk_fma_f32 v[0:1], v[132:133], v[14:15], v[0:1] op_sel:[0,0,1] op_sel_hi:[0,1,0] neg_lo:[0,0,1] neg_hi:[0,0,1]
	v_accvgpr_read_b32 v0, a54
	v_pk_mul_f32 v[10:11], v[0:1], v[8:9] op_sel_hi:[0,1]
	v_accvgpr_read_b32 v0, a52
	v_pk_fma_f32 v[16:17], v[138:139], v[8:9], v[10:11] op_sel:[0,0,1] op_sel_hi:[1,1,0]
	v_pk_fma_f32 v[20:21], v[138:139], v[8:9], v[10:11] op_sel:[0,0,1] op_sel_hi:[0,1,0] neg_lo:[0,0,1] neg_hi:[0,0,1]
	v_pk_mul_f32 v[8:9], v[136:137], v[12:13] op_sel:[1,0]
	s_waitcnt lgkmcnt(0)
	v_pk_mul_f32 v[10:11], v[0:1], v[28:29] op_sel_hi:[0,1]
	v_pk_fma_f32 v[22:23], v[136:137], v[12:13], v[8:9] op_sel:[0,0,1] op_sel_hi:[0,1,0]
	v_pk_fma_f32 v[18:19], v[136:137], v[12:13], v[8:9] op_sel:[0,0,1] op_sel_hi:[0,1,0] neg_lo:[0,0,1] neg_hi:[0,0,1]
	v_pk_fma_f32 v[8:9], v[130:131], v[28:29], v[10:11] op_sel:[0,0,1] op_sel_hi:[1,1,0]
	v_pk_fma_f32 v[14:15], v[130:131], v[28:29], v[10:11] op_sel:[0,0,1] op_sel_hi:[0,1,0] neg_lo:[0,0,1] neg_hi:[0,0,1]
	ds_read2_b64 v[28:31], v79 offset0:96 offset1:240
	v_accvgpr_read_b32 v0, a50
	v_mov_b32_e32 v17, v21
	v_mov_b32_e32 v23, v19
	;; [unrolled: 1-line block ×3, first 2 shown]
	s_waitcnt lgkmcnt(0)
	v_pk_mul_f32 v[12:13], v[128:129], v[30:31] op_sel:[1,0]
	v_pk_mul_f32 v[32:33], v[124:125], v[28:29] op_sel:[1,0]
	v_pk_fma_f32 v[10:11], v[128:129], v[30:31], v[12:13] op_sel:[0,0,1] op_sel_hi:[1,1,0]
	v_pk_fma_f32 v[12:13], v[128:129], v[30:31], v[12:13] op_sel:[0,0,1] op_sel_hi:[0,1,0] neg_lo:[0,0,1] neg_hi:[0,0,1]
	v_pk_mul_f32 v[30:31], v[0:1], v[26:27] op_sel_hi:[0,1]
	v_pk_fma_f32 v[24:25], v[126:127], v[26:27], v[30:31] op_sel:[0,0,1] op_sel_hi:[1,1,0]
	v_pk_fma_f32 v[30:31], v[126:127], v[26:27], v[30:31] op_sel:[0,0,1] op_sel_hi:[0,1,0] neg_lo:[0,0,1] neg_hi:[0,0,1]
	v_pk_fma_f32 v[26:27], v[124:125], v[28:29], v[32:33] op_sel:[0,0,1] op_sel_hi:[1,1,0]
	v_pk_fma_f32 v[28:29], v[124:125], v[28:29], v[32:33] op_sel:[0,0,1] op_sel_hi:[0,1,0] neg_lo:[0,0,1] neg_hi:[0,0,1]
	ds_read2_b64 v[32:35], v99 offset1:144
	v_accvgpr_read_b32 v0, a68
	v_mov_b32_e32 v25, v31
	v_pk_add_f32 v[20:21], v[16:17], v[24:25]
	v_pk_add_f32 v[30:31], v[16:17], v[24:25] neg_lo:[0,1] neg_hi:[0,1]
	s_waitcnt lgkmcnt(0)
	v_pk_mul_f32 v[36:37], v[0:1], v[34:35] op_sel_hi:[0,1]
	v_pk_fma_f32 v[40:41], v[114:115], v[34:35], v[36:37] op_sel:[0,0,1] op_sel_hi:[1,1,0]
	v_pk_fma_f32 v[42:43], v[114:115], v[34:35], v[36:37] op_sel:[0,0,1] op_sel_hi:[0,1,0] neg_lo:[0,0,1] neg_hi:[0,0,1]
	ds_read2_b64 v[34:37], v63 offset0:64 offset1:208
	v_accvgpr_read_b32 v0, a62
	v_mov_b32_e32 v41, v43
	v_mov_b32_e32 v27, v29
	v_pk_mul_f32 v[30:31], v[30:31], s[6:7] op_sel_hi:[1,0]
	s_waitcnt lgkmcnt(0)
	v_pk_mul_f32 v[38:39], v[112:113], v[36:37] op_sel:[1,0]
	v_mov_b32_e32 v11, v13
	v_pk_fma_f32 v[44:45], v[112:113], v[36:37], v[38:39] op_sel:[0,0,1] op_sel_hi:[0,1,0]
	v_pk_fma_f32 v[46:47], v[112:113], v[36:37], v[38:39] op_sel:[0,0,1] op_sel_hi:[0,1,0] neg_lo:[0,0,1] neg_hi:[0,0,1]
	v_pk_mul_f32 v[36:37], v[116:117], v[34:35] op_sel:[1,0]
	v_mov_b32_e32 v45, v47
	v_pk_fma_f32 v[38:39], v[116:117], v[34:35], v[36:37] op_sel:[0,0,1] op_sel_hi:[0,1,0]
	v_pk_fma_f32 v[48:49], v[116:117], v[34:35], v[36:37] op_sel:[0,0,1] op_sel_hi:[0,1,0] neg_lo:[0,0,1] neg_hi:[0,0,1]
	v_pk_mul_f32 v[34:35], v[0:1], v[32:33] op_sel_hi:[0,1]
	v_pk_fma_f32 v[50:51], v[118:119], v[32:33], v[34:35] op_sel:[0,0,1] op_sel_hi:[1,1,0]
	v_pk_fma_f32 v[52:53], v[118:119], v[32:33], v[34:35] op_sel:[0,0,1] op_sel_hi:[0,1,0] neg_lo:[0,0,1] neg_hi:[0,0,1]
	ds_read2_b64 v[32:35], v91 offset1:144
	v_accvgpr_read_b32 v0, a66
	v_mov_b32_e32 v39, v49
	v_mov_b32_e32 v51, v53
	s_waitcnt lgkmcnt(0)
	v_pk_mul_f32 v[36:37], v[0:1], v[34:35] op_sel_hi:[0,1]
	v_pk_fma_f32 v[54:55], v[70:71], v[34:35], v[36:37] op_sel:[0,0,1] op_sel_hi:[1,1,0]
	v_pk_fma_f32 v[112:113], v[70:71], v[34:35], v[36:37] op_sel:[0,0,1] op_sel_hi:[0,1,0] neg_lo:[0,0,1] neg_hi:[0,0,1]
	ds_read2_b64 v[34:37], v83 offset0:64 offset1:208
	v_accvgpr_read_b32 v0, a64
	v_mov_b32_e32 v55, v113
	s_waitcnt lgkmcnt(0)
	v_pk_mul_f32 v[116:117], v[68:69], v[36:37] op_sel:[1,0]
	s_nop 0
	v_pk_fma_f32 v[122:123], v[68:69], v[36:37], v[116:117] op_sel:[0,0,1] op_sel_hi:[1,1,0]
	v_pk_fma_f32 v[68:69], v[68:69], v[36:37], v[116:117] op_sel:[0,0,1] op_sel_hi:[0,1,0] neg_lo:[0,0,1] neg_hi:[0,0,1]
	v_pk_mul_f32 v[36:37], v[64:65], v[34:35] op_sel:[1,0]
	v_mov_b32_e32 v123, v69
	v_pk_fma_f32 v[116:117], v[64:65], v[34:35], v[36:37] op_sel:[0,0,1] op_sel_hi:[1,1,0]
	v_pk_fma_f32 v[36:37], v[64:65], v[34:35], v[36:37] op_sel:[0,0,1] op_sel_hi:[0,1,0] neg_lo:[0,0,1] neg_hi:[0,0,1]
	v_pk_mul_f32 v[34:35], v[0:1], v[32:33] op_sel_hi:[0,1]
	v_pk_fma_f32 v[64:65], v[66:67], v[32:33], v[34:35] op_sel:[0,0,1] op_sel_hi:[1,1,0]
	v_pk_fma_f32 v[124:125], v[66:67], v[32:33], v[34:35] op_sel:[0,0,1] op_sel_hi:[0,1,0] neg_lo:[0,0,1] neg_hi:[0,0,1]
	ds_read2_b64 v[32:35], v221 offset0:96 offset1:240
	v_mov_b32_e32 v117, v37
	v_mov_b32_e32 v0, v38
	;; [unrolled: 1-line block ×4, first 2 shown]
	s_waitcnt lgkmcnt(0)
	v_pk_mul_f32 v[128:129], v[186:187], v[34:35] op_sel:[1,0]
	s_nop 0
	v_pk_fma_f32 v[132:133], v[186:187], v[34:35], v[128:129] op_sel:[0,0,1] op_sel_hi:[1,1,0]
	v_pk_fma_f32 v[128:129], v[186:187], v[34:35], v[128:129] op_sel:[0,0,1] op_sel_hi:[0,1,0] neg_lo:[0,0,1] neg_hi:[0,0,1]
	v_pk_mul_f32 v[34:35], v[184:185], v[32:33] op_sel:[1,0]
	v_mov_b32_e32 v133, v129
	v_pk_fma_f32 v[136:137], v[184:185], v[32:33], v[34:35] op_sel:[0,0,1] op_sel_hi:[1,1,0]
	v_pk_fma_f32 v[140:141], v[184:185], v[32:33], v[34:35] op_sel:[0,0,1] op_sel_hi:[0,1,0] neg_lo:[0,0,1] neg_hi:[0,0,1]
	ds_read2_b64 v[32:35], v220 offset0:64 offset1:208
	v_mov_b32_e32 v137, v141
	v_pk_add_f32 v[28:29], v[26:27], v[136:137]
	v_pk_add_f32 v[12:13], v[10:11], v[132:133] neg_lo:[0,1] neg_hi:[0,1]
	v_fmac_f32_e32 v19, -0.5, v29
	s_waitcnt lgkmcnt(0)
	v_pk_mul_f32 v[142:143], v[210:211], v[34:35] op_sel:[1,0]
	s_nop 0
	v_pk_fma_f32 v[144:145], v[210:211], v[34:35], v[142:143] op_sel:[0,0,1] op_sel_hi:[1,1,0]
	v_pk_fma_f32 v[142:143], v[210:211], v[34:35], v[142:143] op_sel:[0,0,1] op_sel_hi:[0,1,0] neg_lo:[0,0,1] neg_hi:[0,0,1]
	v_pk_mul_f32 v[34:35], v[206:207], v[32:33] op_sel:[1,0]
	v_mov_b32_e32 v145, v143
	v_pk_fma_f32 v[146:147], v[206:207], v[32:33], v[34:35] op_sel:[0,0,1] op_sel_hi:[1,1,0]
	v_pk_fma_f32 v[32:33], v[206:207], v[32:33], v[34:35] op_sel:[0,0,1] op_sel_hi:[0,1,0] neg_lo:[0,0,1] neg_hi:[0,0,1]
	v_mov_b32_e32 v147, v33
	v_pk_add_f32 v[32:33], v[116:117], v[146:147]
	v_pk_add_f32 v[34:35], v[38:39], v[116:117]
	v_pk_add_f32 v[52:53], v[116:117], v[146:147] neg_lo:[0,1] neg_hi:[0,1]
	v_pk_add_f32 v[116:117], v[34:35], v[146:147]
	v_fmac_f32_e32 v0, -0.5, v32
	v_fmac_f32_e32 v49, -0.5, v33
	ds_read2_b64 v[32:35], v216 offset1:144
	v_pk_add_f32 v[38:39], v[50:51], v[64:65] neg_lo:[0,1] neg_hi:[0,1]
	v_fmamk_f32 v6, v52, 0x3f5db3d7, v49
	v_fmac_f32_e32 v49, 0xbf5db3d7, v52
	s_waitcnt lgkmcnt(0)
	v_pk_add_f32 v[36:37], v[32:33], v[50:51]
	s_nop 0
	v_pk_add_f32 v[124:125], v[36:37], v[64:65]
	v_pk_add_f32 v[36:37], v[50:51], v[64:65]
	;; [unrolled: 1-line block ×3, first 2 shown]
	v_pk_fma_f32 v[32:33], v[36:37], 0.5, v[32:33] op_sel_hi:[1,0,1] neg_lo:[1,0,0] neg_hi:[1,0,0]
	v_pk_mul_f32 v[36:37], v[38:39], s[6:7] op_sel_hi:[1,0]
	s_nop 0
	v_pk_add_f32 v[50:51], v[32:33], v[36:37] op_sel:[0,1] op_sel_hi:[1,0] neg_lo:[0,1] neg_hi:[0,1]
	v_pk_add_f32 v[32:33], v[32:33], v[36:37] op_sel:[0,1] op_sel_hi:[1,0]
	v_pk_mul_f32 v[36:37], v[6:7], s[2:3] op_sel_hi:[0,1]
	v_fmamk_f32 v6, v53, 0xbf5db3d7, v0
	v_pk_fma_f32 v[64:65], v[6:7], s[8:9], v[36:37] neg_lo:[0,0,1] neg_hi:[0,0,1]
	v_pk_fma_f32 v[36:37], v[6:7], s[8:9], v[36:37] op_sel_hi:[0,1,1]
	v_mov_b32_e32 v6, v49
	v_fmac_f32_e32 v0, 0x3f5db3d7, v53
	v_pk_mul_f32 v[48:49], v[6:7], s[2:3] op_sel_hi:[0,1]
	v_mov_b32_e32 v147, v33
	v_pk_fma_f32 v[48:49], v[0:1], s[10:11], v[48:49] op_sel_hi:[0,1,1] neg_lo:[0,0,1] neg_hi:[0,0,1]
	v_mov_b32_e32 v33, v51
	v_mov_b32_e32 v65, v37
	;; [unrolled: 1-line block ×3, first 2 shown]
	v_pk_add_f32 v[50:51], v[124:125], v[116:117] neg_lo:[0,1] neg_hi:[0,1]
	v_pk_add_f32 v[52:53], v[32:33], v[48:49]
	ds_read2_b64 v[36:39], v161 offset0:32 offset1:176
	s_waitcnt lgkmcnt(0)
	s_barrier
	ds_write2_b64 v139, v[52:53], v[50:51] offset0:72 offset1:108
	v_pk_add_f32 v[50:51], v[146:147], v[64:65] neg_lo:[0,1] neg_hi:[0,1]
	v_pk_add_f32 v[32:33], v[32:33], v[48:49] neg_lo:[0,1] neg_hi:[0,1]
	ds_write2_b64 v139, v[50:51], v[32:33] offset0:144 offset1:180
	v_pk_add_f32 v[32:33], v[40:41], v[54:55]
	v_pk_add_f32 v[48:49], v[122:123], v[144:145] neg_lo:[0,1] neg_hi:[0,1]
	v_pk_fma_f32 v[32:33], v[32:33], 0.5, v[34:35] op_sel_hi:[1,0,1] neg_lo:[1,0,0] neg_hi:[1,0,0]
	v_pk_add_f32 v[34:35], v[34:35], v[40:41]
	v_pk_add_f32 v[40:41], v[40:41], v[54:55] neg_lo:[0,1] neg_hi:[0,1]
	v_pk_add_f32 v[50:51], v[44:45], v[122:123]
	v_pk_mul_f32 v[40:41], v[40:41], s[6:7] op_sel_hi:[1,0]
	v_pk_add_f32 v[50:51], v[50:51], v[144:145]
	v_pk_add_f32 v[42:43], v[32:33], v[40:41] op_sel:[0,1] op_sel_hi:[1,0] neg_lo:[0,1] neg_hi:[0,1]
	v_pk_add_f32 v[32:33], v[40:41], v[32:33] op_sel:[1,0] op_sel_hi:[0,1]
	v_pk_add_f32 v[40:41], v[122:123], v[144:145]
	v_pk_add_f32 v[34:35], v[34:35], v[54:55]
	v_fmac_f32_e32 v47, -0.5, v41
	v_fmac_f32_e32 v44, -0.5, v40
	v_fmamk_f32 v3, v48, 0x3f5db3d7, v47
	v_fmamk_f32 v0, v49, 0xbf5db3d7, v44
	v_mul_f32_e32 v5, 0xbf5db3d7, v3
	v_mul_f32_e32 v3, 0.5, v3
	v_fmac_f32_e32 v5, 0.5, v0
	v_fmac_f32_e32 v3, 0x3f5db3d7, v0
	v_fmac_f32_e32 v47, 0xbf5db3d7, v48
	v_pk_add_f32 v[150:151], v[146:147], v[64:65]
	v_add_f32_e32 v40, v42, v5
	v_add_f32_e32 v41, v33, v3
	v_pk_add_f32 v[52:53], v[34:35], v[50:51]
	v_mov_b32_e32 v0, v47
	ds_write2_b64 v139, v[148:149], v[150:151] offset1:36
	ds_write2_b64 v115, v[52:53], v[40:41] offset1:36
	v_fmac_f32_e32 v44, 0x3f5db3d7, v49
	v_pk_mul_f32 v[40:41], v[0:1], s[2:3] op_sel_hi:[0,1]
	v_pk_fma_f32 v[40:41], v[44:45], s[10:11], v[40:41] op_sel_hi:[0,1,1] neg_lo:[0,0,1] neg_hi:[0,0,1]
	v_mov_b32_e32 v44, v32
	v_mov_b32_e32 v45, v43
	v_pk_add_f32 v[34:35], v[34:35], v[50:51] neg_lo:[0,1] neg_hi:[0,1]
	v_pk_add_f32 v[46:47], v[44:45], v[40:41]
	ds_write2_b64 v115, v[46:47], v[34:35] offset0:72 offset1:108
	v_sub_f32_e32 v32, v42, v5
	v_sub_f32_e32 v33, v33, v3
	v_pk_add_f32 v[34:35], v[44:45], v[40:41] neg_lo:[0,1] neg_hi:[0,1]
	v_pk_fma_f32 v[20:21], v[20:21], 0.5, v[36:37] op_sel_hi:[1,0,1] neg_lo:[1,0,0] neg_hi:[1,0,0]
	ds_write2_b64 v115, v[32:33], v[34:35] offset0:144 offset1:180
	v_pk_add_f32 v[32:33], v[20:21], v[30:31] op_sel:[0,1] op_sel_hi:[1,0] neg_lo:[0,1] neg_hi:[0,1]
	v_pk_add_f32 v[20:21], v[30:31], v[20:21] op_sel:[1,0] op_sel_hi:[0,1]
	v_pk_add_f32 v[30:31], v[26:27], v[136:137] neg_lo:[0,1] neg_hi:[0,1]
	v_pk_add_f32 v[26:27], v[22:23], v[26:27]
	v_fmac_f32_e32 v22, -0.5, v28
	v_fmamk_f32 v3, v30, 0x3f5db3d7, v19
	v_fmamk_f32 v0, v31, 0xbf5db3d7, v22
	v_mul_f32_e32 v5, 0xbf5db3d7, v3
	v_mul_f32_e32 v3, 0.5, v3
	v_fmac_f32_e32 v19, 0xbf5db3d7, v30
	v_pk_add_f32 v[16:17], v[36:37], v[16:17]
	v_fmac_f32_e32 v5, 0.5, v0
	v_fmac_f32_e32 v3, 0x3f5db3d7, v0
	v_mov_b32_e32 v0, v19
	v_pk_add_f32 v[26:27], v[26:27], v[136:137]
	v_pk_add_f32 v[16:17], v[16:17], v[24:25]
	v_fmac_f32_e32 v22, 0x3f5db3d7, v31
	v_pk_mul_f32 v[18:19], v[0:1], s[2:3] op_sel_hi:[0,1]
	v_add_f32_e32 v24, v32, v5
	v_add_f32_e32 v25, v21, v3
	v_pk_add_f32 v[28:29], v[16:17], v[26:27]
	v_pk_fma_f32 v[18:19], v[22:23], s[10:11], v[18:19] op_sel_hi:[0,1,1] neg_lo:[0,0,1] neg_hi:[0,0,1]
	v_mov_b32_e32 v22, v20
	v_mov_b32_e32 v23, v33
	ds_write2_b64 v119, v[28:29], v[24:25] offset1:36
	v_pk_add_f32 v[16:17], v[16:17], v[26:27] neg_lo:[0,1] neg_hi:[0,1]
	v_pk_add_f32 v[24:25], v[22:23], v[18:19]
	ds_write2_b64 v119, v[24:25], v[16:17] offset0:72 offset1:108
	v_sub_f32_e32 v16, v32, v5
	v_mov_b32_e32 v5, v7
	v_pk_add_f32 v[6:7], v[4:5], v[8:9]
	v_pk_add_f32 v[14:15], v[38:39], v[4:5]
	v_pk_add_f32 v[4:5], v[4:5], v[8:9] neg_lo:[0,1] neg_hi:[0,1]
	v_sub_f32_e32 v17, v21, v3
	v_pk_add_f32 v[18:19], v[22:23], v[18:19] neg_lo:[0,1] neg_hi:[0,1]
	v_pk_fma_f32 v[6:7], v[6:7], 0.5, v[38:39] op_sel_hi:[1,0,1] neg_lo:[1,0,0] neg_hi:[1,0,0]
	v_pk_mul_f32 v[4:5], v[4:5], s[6:7] op_sel_hi:[1,0]
	ds_write2_b64 v119, v[16:17], v[18:19] offset0:144 offset1:180
	v_pk_add_f32 v[16:17], v[6:7], v[4:5] op_sel:[0,1] op_sel_hi:[1,0] neg_lo:[0,1] neg_hi:[0,1]
	v_pk_add_f32 v[4:5], v[4:5], v[6:7] op_sel:[1,0] op_sel_hi:[0,1]
	v_pk_add_f32 v[6:7], v[10:11], v[132:133]
	v_mov_b32_e32 v3, v1
	v_fmac_f32_e32 v1, -0.5, v7
	v_pk_add_f32 v[10:11], v[2:3], v[10:11]
	v_fmac_f32_e32 v2, -0.5, v6
	v_fmamk_f32 v3, v12, 0x3f5db3d7, v1
	v_fmamk_f32 v0, v13, 0xbf5db3d7, v2
	v_mul_f32_e32 v18, 0xbf5db3d7, v3
	v_mul_f32_e32 v19, 0.5, v3
	v_fmac_f32_e32 v1, 0xbf5db3d7, v12
	v_fmac_f32_e32 v18, 0.5, v0
	v_fmac_f32_e32 v19, 0x3f5db3d7, v0
	v_mov_b32_e32 v0, v1
	v_pk_add_f32 v[10:11], v[10:11], v[132:133]
	v_pk_add_f32 v[6:7], v[14:15], v[8:9]
	v_fmac_f32_e32 v2, 0x3f5db3d7, v13
	v_pk_mul_f32 v[0:1], v[0:1], s[2:3] op_sel_hi:[0,1]
	v_add_f32_e32 v8, v16, v18
	v_add_f32_e32 v9, v5, v19
	v_pk_add_f32 v[14:15], v[6:7], v[10:11]
	v_pk_fma_f32 v[0:1], v[2:3], s[10:11], v[0:1] op_sel_hi:[0,1,1] neg_lo:[0,0,1] neg_hi:[0,0,1]
	v_pk_add_f32 v[2:3], v[6:7], v[10:11] neg_lo:[0,1] neg_hi:[0,1]
	v_mov_b32_e32 v6, v4
	v_mov_b32_e32 v7, v17
	ds_write2_b64 v127, v[14:15], v[8:9] offset1:36
	v_pk_add_f32 v[8:9], v[6:7], v[0:1]
	ds_write2_b64 v127, v[8:9], v[2:3] offset0:72 offset1:108
	v_sub_f32_e32 v2, v16, v18
	v_sub_f32_e32 v3, v5, v19
	v_pk_add_f32 v[0:1], v[6:7], v[0:1] neg_lo:[0,1] neg_hi:[0,1]
	ds_write2_b64 v127, v[2:3], v[0:1] offset0:144 offset1:180
	s_waitcnt lgkmcnt(0)
	s_barrier
	ds_read2_b64 v[0:3], v71 offset0:96 offset1:240
	ds_read2_b64 v[4:7], v83 offset0:64 offset1:208
	s_waitcnt lgkmcnt(1)
	v_pk_mul_f32 v[8:9], v[108:109], v[0:1] op_sel:[1,0]
	s_nop 0
	v_pk_fma_f32 v[10:11], v[108:109], v[0:1], v[8:9] op_sel:[0,0,1] op_sel_hi:[1,1,0]
	v_pk_fma_f32 v[8:9], v[108:109], v[0:1], v[8:9] op_sel:[0,0,1] op_sel_hi:[0,1,0] neg_lo:[0,0,1] neg_hi:[0,0,1]
	v_accvgpr_read_b32 v0, a88
	s_waitcnt lgkmcnt(0)
	v_pk_mul_f32 v[0:1], v[0:1], v[4:5] op_sel_hi:[0,1]
	v_pk_fma_f32 v[12:13], v[110:111], v[4:5], v[0:1] op_sel:[0,0,1] op_sel_hi:[1,1,0]
	v_pk_fma_f32 v[14:15], v[110:111], v[4:5], v[0:1] op_sel:[0,0,1] op_sel_hi:[0,1,0] neg_lo:[0,0,1] neg_hi:[0,0,1]
	v_pk_mul_f32 v[0:1], v[104:105], v[2:3] op_sel:[1,0]
	v_accvgpr_read_b32 v4, a84
	v_pk_fma_f32 v[20:21], v[104:105], v[2:3], v[0:1] op_sel:[0,0,1] op_sel_hi:[1,1,0]
	v_pk_fma_f32 v[22:23], v[104:105], v[2:3], v[0:1] op_sel:[0,0,1] op_sel_hi:[0,1,0] neg_lo:[0,0,1] neg_hi:[0,0,1]
	ds_read2_b64 v[0:3], v99 offset1:144
	v_pk_mul_f32 v[4:5], v[4:5], v[6:7] op_sel_hi:[0,1]
	v_pk_fma_f32 v[24:25], v[106:107], v[6:7], v[4:5] op_sel:[0,0,1] op_sel_hi:[1,1,0]
	v_pk_fma_f32 v[26:27], v[106:107], v[6:7], v[4:5] op_sel:[0,0,1] op_sel_hi:[0,1,0] neg_lo:[0,0,1] neg_hi:[0,0,1]
	ds_read2_b64 v[4:7], v79 offset0:96 offset1:240
	s_waitcnt lgkmcnt(1)
	v_pk_mul_f32 v[16:17], v[84:85], v[0:1] op_sel_hi:[1,0]
	v_mov_b32_e32 v8, v1
	v_pk_fma_f32 v[30:31], v[84:85], v[0:1], v[16:17] op_sel:[0,1,1] op_sel_hi:[1,1,0]
	v_accvgpr_read_b32 v0, a72
	s_waitcnt lgkmcnt(0)
	v_pk_mul_f32 v[0:1], v[0:1], v[4:5] op_sel_hi:[0,1]
	v_pk_fma_f32 v[32:33], v[86:87], v[4:5], v[0:1] op_sel:[0,0,1] op_sel_hi:[1,1,0]
	v_pk_fma_f32 v[34:35], v[86:87], v[4:5], v[0:1] op_sel:[0,0,1] op_sel_hi:[0,1,0] neg_lo:[0,0,1] neg_hi:[0,0,1]
	v_accvgpr_read_b32 v0, a70
	v_pk_mul_f32 v[0:1], v[0:1], v[6:7] op_sel_hi:[0,1]
	v_pk_fma_f32 v[36:37], v[82:83], v[6:7], v[0:1] op_sel:[0,0,1] op_sel_hi:[1,1,0]
	v_pk_fma_f32 v[38:39], v[82:83], v[6:7], v[0:1] op_sel:[0,0,1] op_sel_hi:[0,1,0] neg_lo:[0,0,1] neg_hi:[0,0,1]
	ds_read2_b64 v[4:7], v246 offset0:32 offset1:176
	v_pk_fma_f32 v[28:29], v[84:85], v[8:9], v[16:17] op_sel:[0,0,1] op_sel_hi:[1,1,0] neg_lo:[0,0,1] neg_hi:[0,0,1]
	v_mov_b32_e32 v0, v3
	v_pk_mul_f32 v[16:17], v[80:81], v[2:3] op_sel_hi:[1,0]
	v_mov_b32_e32 v11, v9
	v_pk_fma_f32 v[40:41], v[80:81], v[2:3], v[16:17] op_sel:[0,1,1] op_sel_hi:[1,1,0]
	v_pk_fma_f32 v[42:43], v[80:81], v[0:1], v[16:17] op_sel:[0,0,1] op_sel_hi:[1,1,0] neg_lo:[0,0,1] neg_hi:[0,0,1]
	ds_read2_b64 v[0:3], v91 offset1:144
	s_waitcnt lgkmcnt(1)
	v_pk_mul_f32 v[16:17], v[60:61], v[4:5] op_sel_hi:[1,0]
	v_mov_b32_e32 v8, v5
	v_pk_fma_f32 v[46:47], v[60:61], v[4:5], v[16:17] op_sel:[0,1,1] op_sel_hi:[1,1,0]
	v_accvgpr_read_b32 v4, a58
	s_waitcnt lgkmcnt(0)
	v_pk_mul_f32 v[4:5], v[4:5], v[0:1] op_sel_hi:[0,1]
	v_pk_fma_f32 v[48:49], v[62:63], v[0:1], v[4:5] op_sel:[0,0,1] op_sel_hi:[1,1,0]
	v_pk_fma_f32 v[50:51], v[62:63], v[0:1], v[4:5] op_sel:[0,0,1] op_sel_hi:[0,1,0] neg_lo:[0,0,1] neg_hi:[0,0,1]
	v_accvgpr_read_b32 v0, a56
	v_pk_mul_f32 v[0:1], v[0:1], v[2:3] op_sel_hi:[0,1]
	v_pk_fma_f32 v[52:53], v[58:59], v[2:3], v[0:1] op_sel:[0,0,1] op_sel_hi:[1,1,0]
	v_pk_fma_f32 v[54:55], v[58:59], v[2:3], v[0:1] op_sel:[0,0,1] op_sel_hi:[0,1,0] neg_lo:[0,0,1] neg_hi:[0,0,1]
	ds_read2_b64 v[0:3], v59 offset0:32 offset1:176
	v_pk_fma_f32 v[44:45], v[60:61], v[8:9], v[16:17] op_sel:[0,0,1] op_sel_hi:[1,1,0] neg_lo:[0,0,1] neg_hi:[0,0,1]
	v_mov_b32_e32 v4, v7
	v_pk_mul_f32 v[16:17], v[56:57], v[6:7] op_sel_hi:[1,0]
	v_mov_b32_e32 v13, v15
	v_pk_fma_f32 v[60:61], v[56:57], v[6:7], v[16:17] op_sel:[0,1,1] op_sel_hi:[1,1,0]
	v_pk_fma_f32 v[56:57], v[56:57], v[4:5], v[16:17] op_sel:[0,0,1] op_sel_hi:[1,1,0] neg_lo:[0,0,1] neg_hi:[0,0,1]
	s_waitcnt lgkmcnt(0)
	v_pk_mul_f32 v[4:5], v[240:241], v[0:1] op_sel:[1,0]
	v_pk_mul_f32 v[18:19], v[234:235], v[2:3] op_sel:[1,0]
	v_pk_fma_f32 v[16:17], v[240:241], v[0:1], v[4:5] op_sel:[0,0,1] op_sel_hi:[1,1,0]
	v_pk_fma_f32 v[0:1], v[240:241], v[0:1], v[4:5] op_sel:[0,0,1] op_sel_hi:[0,1,0] neg_lo:[0,0,1] neg_hi:[0,0,1]
	ds_read2_b64 v[4:7], v216 offset1:144
	v_mov_b32_e32 v17, v1
	v_pk_add_f32 v[0:1], v[10:11], v[16:17] neg_lo:[0,1] neg_hi:[0,1]
	v_pk_fma_f32 v[64:65], v[234:235], v[2:3], v[18:19] op_sel:[0,0,1] op_sel_hi:[1,1,0]
	v_pk_fma_f32 v[68:69], v[234:235], v[2:3], v[18:19] op_sel:[0,0,1] op_sel_hi:[0,1,0] neg_lo:[0,0,1] neg_hi:[0,0,1]
	s_waitcnt lgkmcnt(0)
	v_pk_add_f32 v[80:81], v[4:5], v[12:13] neg_lo:[0,1] neg_hi:[0,1]
	v_pk_fma_f32 v[2:3], v[10:11], 2.0, v[0:1] op_sel_hi:[1,0,1] neg_lo:[0,0,1] neg_hi:[0,0,1]
	v_pk_add_f32 v[84:85], v[80:81], v[0:1] op_sel:[0,1] op_sel_hi:[1,0]
	v_pk_add_f32 v[0:1], v[80:81], v[0:1] op_sel:[0,1] op_sel_hi:[1,0] neg_lo:[0,1] neg_hi:[0,1]
	v_accvgpr_read_b32 v21, a35
	v_mov_b32_e32 v85, v1
	v_pk_fma_f32 v[0:1], v[4:5], 2.0, v[80:81] op_sel_hi:[1,0,1] neg_lo:[0,0,1] neg_hi:[0,0,1]
	v_pk_fma_f32 v[80:81], v[80:81], 2.0, v[84:85] op_sel_hi:[1,0,1] neg_lo:[0,0,1] neg_hi:[0,0,1]
	v_pk_add_f32 v[4:5], v[0:1], v[2:3] neg_lo:[0,1] neg_hi:[0,1]
	v_mov_b32_e32 v25, v27
	v_pk_fma_f32 v[104:105], v[0:1], 2.0, v[4:5] op_sel_hi:[1,0,1] neg_lo:[0,0,1] neg_hi:[0,0,1]
	ds_read2_b64 v[0:3], v161 offset0:32 offset1:176
	ds_read2_b64 v[8:11], v220 offset0:64 offset1:208
	;; [unrolled: 1-line block ×4, first 2 shown]
	s_waitcnt lgkmcnt(0)
	s_barrier
	ds_write2_b64 v216, v[104:105], v[80:81] offset1:216
	ds_write2_b64 v21, v[4:5], v[84:85] offset0:16 offset1:232
	v_mov_b32_e32 v21, v23
	v_mov_b32_e32 v65, v69
	v_pk_add_f32 v[4:5], v[6:7], v[24:25] neg_lo:[0,1] neg_hi:[0,1]
	v_pk_add_f32 v[22:23], v[20:21], v[64:65] neg_lo:[0,1] neg_hi:[0,1]
	v_pk_fma_f32 v[6:7], v[6:7], 2.0, v[4:5] op_sel_hi:[1,0,1] neg_lo:[0,0,1] neg_hi:[0,0,1]
	v_pk_fma_f32 v[20:21], v[20:21], 2.0, v[22:23] op_sel_hi:[1,0,1] neg_lo:[0,0,1] neg_hi:[0,0,1]
	v_pk_add_f32 v[24:25], v[4:5], v[22:23] op_sel:[0,1] op_sel_hi:[1,0]
	v_pk_add_f32 v[22:23], v[4:5], v[22:23] op_sel:[0,1] op_sel_hi:[1,0] neg_lo:[0,1] neg_hi:[0,1]
	v_pk_add_f32 v[20:21], v[6:7], v[20:21] neg_lo:[0,1] neg_hi:[0,1]
	v_mov_b32_e32 v25, v23
	v_pk_fma_f32 v[6:7], v[6:7], 2.0, v[20:21] op_sel_hi:[1,0,1] neg_lo:[0,0,1] neg_hi:[0,0,1]
	v_pk_fma_f32 v[4:5], v[4:5], 2.0, v[24:25] op_sel_hi:[1,0,1] neg_lo:[0,0,1] neg_hi:[0,0,1]
	ds_write2_b64 v67, v[6:7], v[4:5] offset1:216
	ds_write2_b64 v159, v[20:21], v[24:25] offset0:16 offset1:232
	v_mov_b32_e32 v4, v9
	v_pk_mul_f32 v[6:7], v[222:223], v[8:9] op_sel_hi:[1,0]
	v_mov_b32_e32 v29, v31
	v_pk_fma_f32 v[4:5], v[222:223], v[4:5], v[6:7] op_sel:[0,0,1] op_sel_hi:[1,1,0] neg_lo:[0,0,1] neg_hi:[0,0,1]
	v_pk_fma_f32 v[6:7], v[222:223], v[8:9], v[6:7] op_sel:[0,1,1] op_sel_hi:[1,1,0]
	v_mov_b32_e32 v33, v35
	v_mov_b32_e32 v5, v7
	v_pk_add_f32 v[6:7], v[0:1], v[32:33] neg_lo:[0,1] neg_hi:[0,1]
	v_pk_add_f32 v[4:5], v[28:29], v[4:5] neg_lo:[0,1] neg_hi:[0,1]
	v_pk_fma_f32 v[0:1], v[0:1], 2.0, v[6:7] op_sel_hi:[1,0,1] neg_lo:[0,0,1] neg_hi:[0,0,1]
	v_pk_add_f32 v[8:9], v[6:7], v[4:5]
	v_pk_add_f32 v[20:21], v[6:7], v[4:5] neg_lo:[0,1] neg_hi:[0,1]
	v_pk_fma_f32 v[4:5], v[28:29], 2.0, v[4:5] op_sel_hi:[1,0,1] neg_lo:[0,0,1] neg_hi:[0,0,1]
	v_mov_b32_e32 v9, v21
	v_pk_add_f32 v[4:5], v[0:1], v[4:5] op_sel:[0,1] op_sel_hi:[1,0] neg_lo:[0,1] neg_hi:[0,1]
	v_pk_fma_f32 v[20:21], v[6:7], 2.0, v[8:9] op_sel_hi:[1,0,1] neg_lo:[0,0,1] neg_hi:[0,0,1]
	v_pk_fma_f32 v[0:1], v[0:1], 2.0, v[4:5] op_sel_hi:[1,0,1] neg_lo:[0,0,1] neg_hi:[0,0,1]
	ds_write2_b64 v135, v[0:1], v[20:21] offset0:8 offset1:224
	ds_write2_b64 v111, v[4:5], v[8:9] offset0:24 offset1:240
	v_mov_b32_e32 v0, v11
	v_pk_mul_f32 v[4:5], v[208:209], v[10:11] op_sel_hi:[1,0]
	v_mov_b32_e32 v43, v41
	v_pk_fma_f32 v[6:7], v[208:209], v[10:11], v[4:5] op_sel:[0,1,1] op_sel_hi:[1,1,0]
	v_pk_fma_f32 v[0:1], v[208:209], v[0:1], v[4:5] op_sel:[0,0,1] op_sel_hi:[1,1,0] neg_lo:[0,0,1] neg_hi:[0,0,1]
	v_mov_b32_e32 v37, v39
	v_mov_b32_e32 v1, v7
	v_pk_add_f32 v[4:5], v[2:3], v[36:37] neg_lo:[0,1] neg_hi:[0,1]
	v_pk_add_f32 v[0:1], v[42:43], v[0:1] neg_lo:[0,1] neg_hi:[0,1]
	v_pk_fma_f32 v[2:3], v[2:3], 2.0, v[4:5] op_sel_hi:[1,0,1] neg_lo:[0,0,1] neg_hi:[0,0,1]
	v_pk_add_f32 v[6:7], v[4:5], v[0:1]
	v_pk_add_f32 v[8:9], v[4:5], v[0:1] neg_lo:[0,1] neg_hi:[0,1]
	v_pk_fma_f32 v[0:1], v[42:43], 2.0, v[0:1] op_sel_hi:[1,0,1] neg_lo:[0,0,1] neg_hi:[0,0,1]
	v_mov_b32_e32 v7, v9
	v_pk_add_f32 v[0:1], v[2:3], v[0:1] op_sel:[0,1] op_sel_hi:[1,0] neg_lo:[0,1] neg_hi:[0,1]
	v_pk_fma_f32 v[4:5], v[4:5], 2.0, v[6:7] op_sel_hi:[1,0,1] neg_lo:[0,0,1] neg_hi:[0,0,1]
	v_pk_fma_f32 v[2:3], v[2:3], 2.0, v[0:1] op_sel_hi:[1,0,1] neg_lo:[0,0,1] neg_hi:[0,0,1]
	v_accvgpr_read_b32 v8, a39
	ds_write2_b64 v8, v[2:3], v[4:5] offset1:216
	ds_write2_b64 v87, v[0:1], v[6:7] offset0:16 offset1:232
	v_mov_b32_e32 v0, v17
	v_pk_mul_f32 v[2:3], v[198:199], v[16:17] op_sel_hi:[1,0]
	v_mov_b32_e32 v45, v47
	v_pk_fma_f32 v[0:1], v[198:199], v[0:1], v[2:3] op_sel:[0,0,1] op_sel_hi:[1,1,0] neg_lo:[0,0,1] neg_hi:[0,0,1]
	v_pk_fma_f32 v[2:3], v[198:199], v[16:17], v[2:3] op_sel:[0,1,1] op_sel_hi:[1,1,0]
	v_mov_b32_e32 v49, v51
	v_mov_b32_e32 v1, v3
	v_pk_add_f32 v[2:3], v[12:13], v[48:49] neg_lo:[0,1] neg_hi:[0,1]
	v_pk_add_f32 v[0:1], v[44:45], v[0:1] neg_lo:[0,1] neg_hi:[0,1]
	v_mov_b32_e32 v57, v61
	v_pk_add_f32 v[4:5], v[2:3], v[0:1]
	v_pk_add_f32 v[6:7], v[2:3], v[0:1] neg_lo:[0,1] neg_hi:[0,1]
	v_pk_fma_f32 v[0:1], v[44:45], 2.0, v[0:1] op_sel_hi:[1,0,1] neg_lo:[0,0,1] neg_hi:[0,0,1]
	v_mov_b32_e32 v5, v7
	v_pk_fma_f32 v[6:7], v[2:3], 2.0, v[4:5] op_sel_hi:[1,0,1] neg_lo:[0,0,1] neg_hi:[0,0,1]
	v_pk_fma_f32 v[2:3], v[12:13], 2.0, v[2:3] op_sel_hi:[1,0,1] neg_lo:[0,0,1] neg_hi:[0,0,1]
	v_mov_b32_e32 v53, v55
	v_pk_add_f32 v[0:1], v[2:3], v[0:1] op_sel:[0,1] op_sel_hi:[1,0] neg_lo:[0,1] neg_hi:[0,1]
	v_accvgpr_read_b32 v8, a37
	v_pk_fma_f32 v[2:3], v[2:3], 2.0, v[0:1] op_sel_hi:[1,0,1] neg_lo:[0,0,1] neg_hi:[0,0,1]
	ds_write2_b64 v131, v[2:3], v[6:7] offset1:216
	ds_write2_b64 v107, v[0:1], v[4:5] offset0:16 offset1:232
	v_mov_b32_e32 v0, v19
	v_pk_mul_f32 v[2:3], v[196:197], v[18:19] op_sel_hi:[1,0]
	s_nop 0
	v_pk_fma_f32 v[4:5], v[196:197], v[18:19], v[2:3] op_sel:[0,1,1] op_sel_hi:[1,1,0]
	v_pk_fma_f32 v[0:1], v[196:197], v[0:1], v[2:3] op_sel:[0,0,1] op_sel_hi:[1,1,0] neg_lo:[0,0,1] neg_hi:[0,0,1]
	v_pk_add_f32 v[2:3], v[14:15], v[52:53] neg_lo:[0,1] neg_hi:[0,1]
	v_mov_b32_e32 v1, v5
	v_pk_add_f32 v[0:1], v[56:57], v[0:1] neg_lo:[0,1] neg_hi:[0,1]
	s_nop 0
	v_pk_add_f32 v[4:5], v[2:3], v[0:1]
	v_pk_add_f32 v[6:7], v[2:3], v[0:1] neg_lo:[0,1] neg_hi:[0,1]
	v_pk_fma_f32 v[0:1], v[56:57], 2.0, v[0:1] op_sel_hi:[1,0,1] neg_lo:[0,0,1] neg_hi:[0,0,1]
	v_mov_b32_e32 v5, v7
	v_pk_fma_f32 v[6:7], v[14:15], 2.0, v[2:3] op_sel_hi:[1,0,1] neg_lo:[0,0,1] neg_hi:[0,0,1]
	v_pk_fma_f32 v[2:3], v[2:3], 2.0, v[4:5] op_sel_hi:[1,0,1] neg_lo:[0,0,1] neg_hi:[0,0,1]
	v_pk_add_f32 v[0:1], v[6:7], v[0:1] op_sel:[0,1] op_sel_hi:[1,0] neg_lo:[0,1] neg_hi:[0,1]
	s_nop 0
	v_pk_fma_f32 v[6:7], v[6:7], 2.0, v[0:1] op_sel_hi:[1,0,1] neg_lo:[0,0,1] neg_hi:[0,0,1]
	ds_write2_b64 v8, v[6:7], v[2:3] offset0:32 offset1:248
	v_accvgpr_read_b32 v2, a41
	ds_write2_b64 v2, v[0:1], v[4:5] offset0:16 offset1:232
	s_waitcnt lgkmcnt(0)
	s_barrier
	ds_read2_b64 v[0:3], v71 offset0:96 offset1:240
	ds_read2_b64 v[4:7], v83 offset0:64 offset1:208
	s_waitcnt lgkmcnt(1)
	v_pk_mul_f32 v[8:9], v[88:89], v[0:1] op_sel:[1,0]
	s_nop 0
	v_pk_fma_f32 v[12:13], v[88:89], v[0:1], v[8:9] op_sel:[0,0,1] op_sel_hi:[1,1,0]
	v_pk_fma_f32 v[14:15], v[88:89], v[0:1], v[8:9] op_sel:[0,0,1] op_sel_hi:[0,1,0] neg_lo:[0,0,1] neg_hi:[0,0,1]
	v_accvgpr_read_b32 v0, a80
	s_waitcnt lgkmcnt(0)
	v_pk_mul_f32 v[0:1], v[0:1], v[4:5] op_sel_hi:[0,1]
	v_pk_fma_f32 v[16:17], v[90:91], v[4:5], v[0:1] op_sel:[0,0,1] op_sel_hi:[1,1,0]
	v_pk_fma_f32 v[18:19], v[90:91], v[4:5], v[0:1] op_sel:[0,0,1] op_sel_hi:[0,1,0] neg_lo:[0,0,1] neg_hi:[0,0,1]
	v_pk_mul_f32 v[0:1], v[72:73], v[2:3] op_sel:[1,0]
	v_accvgpr_read_b32 v4, a76
	v_pk_fma_f32 v[20:21], v[72:73], v[2:3], v[0:1] op_sel:[0,0,1] op_sel_hi:[1,1,0]
	v_pk_fma_f32 v[22:23], v[72:73], v[2:3], v[0:1] op_sel:[0,0,1] op_sel_hi:[0,1,0] neg_lo:[0,0,1] neg_hi:[0,0,1]
	ds_read2_b64 v[0:3], v99 offset1:144
	v_pk_mul_f32 v[4:5], v[4:5], v[6:7] op_sel_hi:[0,1]
	ds_read2_b64 v[8:11], v79 offset0:96 offset1:240
	v_pk_fma_f32 v[24:25], v[74:75], v[6:7], v[4:5] op_sel:[0,0,1] op_sel_hi:[1,1,0]
	v_pk_fma_f32 v[26:27], v[74:75], v[6:7], v[4:5] op_sel:[0,0,1] op_sel_hi:[0,1,0] neg_lo:[0,0,1] neg_hi:[0,0,1]
	s_waitcnt lgkmcnt(1)
	v_pk_mul_f32 v[4:5], v[92:93], v[0:1] op_sel:[1,0]
	v_mov_b32_e32 v13, v15
	v_pk_fma_f32 v[28:29], v[92:93], v[0:1], v[4:5] op_sel:[0,0,1] op_sel_hi:[1,1,0]
	v_pk_fma_f32 v[30:31], v[92:93], v[0:1], v[4:5] op_sel:[0,0,1] op_sel_hi:[0,1,0] neg_lo:[0,0,1] neg_hi:[0,0,1]
	ds_read2_b64 v[4:7], v59 offset0:32 offset1:176
	v_accvgpr_read_b32 v0, a86
	s_waitcnt lgkmcnt(1)
	v_pk_mul_f32 v[0:1], v[0:1], v[8:9] op_sel_hi:[0,1]
	v_pk_fma_f32 v[32:33], v[94:95], v[8:9], v[0:1] op_sel:[0,0,1] op_sel_hi:[1,1,0]
	v_pk_fma_f32 v[34:35], v[94:95], v[8:9], v[0:1] op_sel:[0,0,1] op_sel_hi:[0,1,0] neg_lo:[0,0,1] neg_hi:[0,0,1]
	v_pk_mul_f32 v[0:1], v[76:77], v[2:3] op_sel:[1,0]
	v_mov_b32_e32 v17, v19
	v_pk_fma_f32 v[36:37], v[76:77], v[2:3], v[0:1] op_sel:[0,0,1] op_sel_hi:[1,1,0]
	v_pk_fma_f32 v[38:39], v[76:77], v[2:3], v[0:1] op_sel:[0,0,1] op_sel_hi:[0,1,0] neg_lo:[0,0,1] neg_hi:[0,0,1]
	s_waitcnt lgkmcnt(0)
	v_pk_mul_f32 v[0:1], v[238:239], v[4:5] op_sel:[1,0]
	v_mov_b32_e32 v21, v23
	v_pk_fma_f32 v[8:9], v[238:239], v[4:5], v[0:1] op_sel:[0,0,1] op_sel_hi:[1,1,0]
	v_pk_fma_f32 v[4:5], v[238:239], v[4:5], v[0:1] op_sel:[0,0,1] op_sel_hi:[0,1,0] neg_lo:[0,0,1] neg_hi:[0,0,1]
	v_pk_mul_f32 v[0:1], v[236:237], v[6:7] op_sel:[1,0]
	v_mov_b32_e32 v9, v5
	v_pk_fma_f32 v[40:41], v[236:237], v[6:7], v[0:1] op_sel:[0,0,1] op_sel_hi:[1,1,0]
	v_pk_fma_f32 v[6:7], v[236:237], v[6:7], v[0:1] op_sel:[0,0,1] op_sel_hi:[0,1,0] neg_lo:[0,0,1] neg_hi:[0,0,1]
	ds_read2_b64 v[0:3], v216 offset1:144
	v_mov_b32_e32 v25, v27
	v_pk_add_f32 v[26:27], v[12:13], v[8:9] neg_lo:[0,1] neg_hi:[0,1]
	v_mov_b32_e32 v41, v7
	v_pk_fma_f32 v[4:5], v[12:13], 2.0, v[26:27] op_sel_hi:[1,0,1] neg_lo:[0,0,1] neg_hi:[0,0,1]
	s_waitcnt lgkmcnt(0)
	v_pk_add_f32 v[22:23], v[0:1], v[16:17] neg_lo:[0,1] neg_hi:[0,1]
	v_pk_add_f32 v[24:25], v[2:3], v[24:25] neg_lo:[0,1] neg_hi:[0,1]
	v_pk_fma_f32 v[0:1], v[0:1], 2.0, v[22:23] op_sel_hi:[1,0,1] neg_lo:[0,0,1] neg_hi:[0,0,1]
	v_pk_add_f32 v[40:41], v[20:21], v[40:41] neg_lo:[0,1] neg_hi:[0,1]
	v_pk_add_f32 v[42:43], v[0:1], v[4:5] neg_lo:[0,1] neg_hi:[0,1]
	v_pk_fma_f32 v[2:3], v[2:3], 2.0, v[24:25] op_sel_hi:[1,0,1] neg_lo:[0,0,1] neg_hi:[0,0,1]
	v_pk_fma_f32 v[8:9], v[0:1], 2.0, v[42:43] op_sel_hi:[1,0,1] neg_lo:[0,0,1] neg_hi:[0,0,1]
	v_pk_fma_f32 v[0:1], v[20:21], 2.0, v[40:41] op_sel_hi:[1,0,1] neg_lo:[0,0,1] neg_hi:[0,0,1]
	v_mov_b32_e32 v29, v31
	v_pk_add_f32 v[20:21], v[2:3], v[0:1] neg_lo:[0,1] neg_hi:[0,1]
	v_mov_b32_e32 v33, v35
	v_pk_fma_f32 v[12:13], v[2:3], 2.0, v[20:21] op_sel_hi:[1,0,1] neg_lo:[0,0,1] neg_hi:[0,0,1]
	ds_read2_b64 v[0:3], v161 offset0:32 offset1:176
	ds_read2_b64 v[4:7], v220 offset0:64 offset1:208
	ds_write2_b64 v216, v[8:9], v[12:13] offset1:144
	ds_read2_b64 v[12:15], v246 offset0:32 offset1:176
	ds_read2_b64 v[16:19], v91 offset1:144
	v_accvgpr_read_b32 v8, a74
	v_pk_mul_f32 v[8:9], v[8:9], v[10:11] op_sel_hi:[0,1]
	v_pk_fma_f32 v[44:45], v[78:79], v[10:11], v[8:9] op_sel:[0,0,1] op_sel_hi:[1,1,0]
	v_pk_fma_f32 v[46:47], v[78:79], v[10:11], v[8:9] op_sel:[0,0,1] op_sel_hi:[0,1,0] neg_lo:[0,0,1] neg_hi:[0,0,1]
	s_waitcnt lgkmcnt(1)
	v_pk_mul_f32 v[8:9], v[100:101], v[12:13] op_sel:[1,0]
	v_pk_mul_f32 v[56:57], v[228:229], v[4:5] op_sel:[1,0]
	v_pk_fma_f32 v[48:49], v[100:101], v[12:13], v[8:9] op_sel:[0,0,1] op_sel_hi:[1,1,0]
	v_pk_fma_f32 v[12:13], v[100:101], v[12:13], v[8:9] op_sel:[0,0,1] op_sel_hi:[0,1,0] neg_lo:[0,0,1] neg_hi:[0,0,1]
	v_accvgpr_read_b32 v8, a82
	s_waitcnt lgkmcnt(0)
	v_pk_mul_f32 v[8:9], v[8:9], v[16:17] op_sel_hi:[0,1]
	v_pk_fma_f32 v[50:51], v[102:103], v[16:17], v[8:9] op_sel:[0,0,1] op_sel_hi:[1,1,0]
	v_pk_fma_f32 v[16:17], v[102:103], v[16:17], v[8:9] op_sel:[0,0,1] op_sel_hi:[0,1,0] neg_lo:[0,0,1] neg_hi:[0,0,1]
	v_pk_mul_f32 v[8:9], v[96:97], v[14:15] op_sel:[1,0]
	v_pk_fma_f32 v[58:59], v[228:229], v[4:5], v[56:57] op_sel:[0,0,1] op_sel_hi:[1,1,0]
	v_pk_fma_f32 v[52:53], v[96:97], v[14:15], v[8:9] op_sel:[0,0,1] op_sel_hi:[1,1,0]
	v_pk_fma_f32 v[14:15], v[96:97], v[14:15], v[8:9] op_sel:[0,0,1] op_sel_hi:[0,1,0] neg_lo:[0,0,1] neg_hi:[0,0,1]
	v_accvgpr_read_b32 v8, a78
	v_pk_mul_f32 v[8:9], v[8:9], v[18:19] op_sel_hi:[0,1]
	v_pk_fma_f32 v[4:5], v[228:229], v[4:5], v[56:57] op_sel:[0,0,1] op_sel_hi:[0,1,0] neg_lo:[0,0,1] neg_hi:[0,0,1]
	v_pk_mul_f32 v[56:57], v[226:227], v[6:7] op_sel:[1,0]
	v_pk_fma_f32 v[54:55], v[98:99], v[18:19], v[8:9] op_sel:[0,0,1] op_sel_hi:[1,1,0]
	v_pk_fma_f32 v[18:19], v[98:99], v[18:19], v[8:9] op_sel:[0,0,1] op_sel_hi:[0,1,0] neg_lo:[0,0,1] neg_hi:[0,0,1]
	ds_read2_b64 v[8:11], v221 offset0:96 offset1:240
	v_pk_fma_f32 v[60:61], v[226:227], v[6:7], v[56:57] op_sel:[0,0,1] op_sel_hi:[1,1,0]
	v_pk_fma_f32 v[6:7], v[226:227], v[6:7], v[56:57] op_sel:[0,0,1] op_sel_hi:[0,1,0] neg_lo:[0,0,1] neg_hi:[0,0,1]
	v_mov_b32_e32 v59, v5
	v_mov_b32_e32 v45, v47
	;; [unrolled: 1-line block ×3, first 2 shown]
	v_pk_add_f32 v[4:5], v[0:1], v[32:33] neg_lo:[0,1] neg_hi:[0,1]
	v_pk_add_f32 v[6:7], v[2:3], v[44:45] neg_lo:[0,1] neg_hi:[0,1]
	v_mov_b32_e32 v49, v13
	v_pk_add_f32 v[12:13], v[28:29], v[58:59] neg_lo:[0,1] neg_hi:[0,1]
	v_pk_fma_f32 v[0:1], v[0:1], 2.0, v[4:5] op_sel_hi:[1,0,1] neg_lo:[0,0,1] neg_hi:[0,0,1]
	v_pk_fma_f32 v[30:31], v[2:3], 2.0, v[6:7] op_sel_hi:[1,0,1] neg_lo:[0,0,1] neg_hi:[0,0,1]
	;; [unrolled: 1-line block ×3, first 2 shown]
	s_waitcnt lgkmcnt(0)
	v_pk_mul_f32 v[56:57], v[250:251], v[8:9] op_sel:[1,0]
	v_pk_add_f32 v[28:29], v[0:1], v[2:3] neg_lo:[0,1] neg_hi:[0,1]
	v_pk_add_f32 v[44:45], v[22:23], v[26:27] op_sel:[0,1] op_sel_hi:[1,0]
	v_pk_fma_f32 v[32:33], v[0:1], 2.0, v[28:29] op_sel_hi:[1,0,1] neg_lo:[0,0,1] neg_hi:[0,0,1]
	ds_read2_b64 v[0:3], v103 offset0:64 offset1:208
	v_pk_add_f32 v[26:27], v[22:23], v[26:27] op_sel:[0,1] op_sel_hi:[1,0] neg_lo:[0,1] neg_hi:[0,1]
	v_pk_fma_f32 v[62:63], v[250:251], v[8:9], v[56:57] op_sel:[0,0,1] op_sel_hi:[1,1,0]
	v_pk_fma_f32 v[8:9], v[250:251], v[8:9], v[56:57] op_sel:[0,0,1] op_sel_hi:[0,1,0] neg_lo:[0,0,1] neg_hi:[0,0,1]
	v_pk_mul_f32 v[56:57], v[248:249], v[10:11] op_sel:[1,0]
	v_mov_b32_e32 v45, v27
	v_pk_add_f32 v[26:27], v[24:25], v[40:41] op_sel:[0,1] op_sel_hi:[1,0]
	v_pk_add_f32 v[40:41], v[24:25], v[40:41] op_sel:[0,1] op_sel_hi:[1,0] neg_lo:[0,1] neg_hi:[0,1]
	v_pk_fma_f32 v[64:65], v[248:249], v[10:11], v[56:57] op_sel:[0,0,1] op_sel_hi:[1,1,0]
	v_pk_fma_f32 v[10:11], v[248:249], v[10:11], v[56:57] op_sel:[0,0,1] op_sel_hi:[0,1,0] neg_lo:[0,0,1] neg_hi:[0,0,1]
	v_mov_b32_e32 v27, v41
	v_mov_b32_e32 v37, v39
	;; [unrolled: 1-line block ×7, first 2 shown]
	v_pk_fma_f32 v[22:23], v[22:23], 2.0, v[44:45] op_sel_hi:[1,0,1] neg_lo:[0,0,1] neg_hi:[0,0,1]
	v_pk_fma_f32 v[24:25], v[24:25], 2.0, v[26:27] op_sel_hi:[1,0,1] neg_lo:[0,0,1] neg_hi:[0,0,1]
	v_pk_add_f32 v[8:9], v[36:37], v[60:61] neg_lo:[0,1] neg_hi:[0,1]
	s_waitcnt lgkmcnt(0)
	v_pk_add_f32 v[34:35], v[0:1], v[50:51] neg_lo:[0,1] neg_hi:[0,1]
	v_pk_add_f32 v[14:15], v[48:49], v[62:63] neg_lo:[0,1] neg_hi:[0,1]
	;; [unrolled: 1-line block ×4, first 2 shown]
	ds_write_b64 v216, v[42:43] offset:13824
	ds_write2_b64 v71, v[22:23], v[24:25] offset0:96 offset1:240
	ds_write2_b64 v66, v[44:45], v[26:27] offset0:32 offset1:176
	v_pk_add_f32 v[22:23], v[4:5], v[12:13] op_sel:[0,1] op_sel_hi:[1,0]
	v_pk_add_f32 v[12:13], v[4:5], v[12:13] op_sel:[0,1] op_sel_hi:[1,0] neg_lo:[0,1] neg_hi:[0,1]
	v_pk_fma_f32 v[16:17], v[36:37], 2.0, v[8:9] op_sel_hi:[1,0,1] neg_lo:[0,0,1] neg_hi:[0,0,1]
	v_pk_fma_f32 v[0:1], v[0:1], 2.0, v[34:35] op_sel_hi:[1,0,1] neg_lo:[0,0,1] neg_hi:[0,0,1]
	;; [unrolled: 1-line block ×5, first 2 shown]
	v_mov_b32_e32 v23, v13
	v_pk_add_f32 v[12:13], v[6:7], v[8:9] op_sel:[0,1] op_sel_hi:[1,0]
	v_pk_add_f32 v[8:9], v[6:7], v[8:9] op_sel:[0,1] op_sel_hi:[1,0] neg_lo:[0,1] neg_hi:[0,1]
	v_pk_add_f32 v[36:37], v[0:1], v[36:37] neg_lo:[0,1] neg_hi:[0,1]
	v_pk_add_f32 v[38:39], v[2:3], v[38:39] neg_lo:[0,1] neg_hi:[0,1]
	v_mov_b32_e32 v13, v9
	v_pk_add_f32 v[16:17], v[30:31], v[16:17] neg_lo:[0,1] neg_hi:[0,1]
	v_pk_fma_f32 v[0:1], v[0:1], 2.0, v[36:37] op_sel_hi:[1,0,1] neg_lo:[0,0,1] neg_hi:[0,0,1]
	v_pk_fma_f32 v[2:3], v[2:3], 2.0, v[38:39] op_sel_hi:[1,0,1] neg_lo:[0,0,1] neg_hi:[0,0,1]
	;; [unrolled: 1-line block ×5, first 2 shown]
	ds_write2_b64 v95, v[20:21], v[28:29] offset0:80 offset1:224
	ds_write2_b64 v161, v[32:33], v[30:31] offset0:32 offset1:176
	ds_write2_b64 v99, v[4:5], v[6:7] offset1:144
	ds_write2_b64 v220, v[22:23], v[12:13] offset0:64 offset1:208
	v_pk_add_f32 v[4:5], v[34:35], v[14:15] op_sel:[0,1] op_sel_hi:[1,0]
	v_pk_add_f32 v[6:7], v[34:35], v[14:15] op_sel:[0,1] op_sel_hi:[1,0] neg_lo:[0,1] neg_hi:[0,1]
	ds_write2_b64 v75, v[16:17], v[36:37] offset0:48 offset1:192
	ds_write2_b64 v103, v[0:1], v[2:3] offset0:64 offset1:208
	v_pk_add_f32 v[0:1], v[10:11], v[18:19] op_sel:[0,1] op_sel_hi:[1,0]
	v_pk_add_f32 v[2:3], v[10:11], v[18:19] op_sel:[0,1] op_sel_hi:[1,0] neg_lo:[0,1] neg_hi:[0,1]
	v_mov_b32_e32 v5, v7
	v_mov_b32_e32 v1, v3
	v_pk_fma_f32 v[6:7], v[34:35], 2.0, v[4:5] op_sel_hi:[1,0,1] neg_lo:[0,0,1] neg_hi:[0,0,1]
	v_pk_fma_f32 v[2:3], v[10:11], 2.0, v[0:1] op_sel_hi:[1,0,1] neg_lo:[0,0,1] neg_hi:[0,0,1]
	ds_write2_b64 v246, v[6:7], v[2:3] offset0:32 offset1:176
	ds_write_b64 v216, v[38:39] offset:19584
	ds_write2_b64 v221, v[4:5], v[0:1] offset0:96 offset1:240
	s_waitcnt lgkmcnt(0)
	s_barrier
	ds_read2_b64 v[0:3], v216 offset1:144
	v_accvgpr_read_b32 v6, a22
	v_accvgpr_read_b32 v7, a23
	v_mov_b32_e32 v8, s0
	v_mov_b32_e32 v9, s1
	s_waitcnt lgkmcnt(0)
	v_mul_f32_e32 v4, v7, v1
	v_fmac_f32_e32 v4, v6, v0
	v_mul_f32_e32 v0, v7, v0
	s_mov_b32 s0, 0xbda12f68
	v_fma_f32 v0, v6, v1, -v0
	s_mov_b32 s1, 0x3f32f684
	v_cvt_f64_f32_e32 v[0:1], v0
	v_cvt_f64_f32_e32 v[4:5], v4
	v_mul_f64 v[0:1], v[0:1], s[0:1]
	v_mul_f64 v[4:5], v[4:5], s[0:1]
	v_cvt_f32_f64_e32 v11, v[0:1]
	v_mad_u64_u32 v[0:1], s[2:3], s4, v120, 0
	v_cvt_f32_f64_e32 v10, v[4:5]
	v_mov_b32_e32 v4, v1
	v_accvgpr_read_b32 v14, a0
	v_accvgpr_read_b32 v15, a2
	v_mad_u64_u32 v[12:13], s[2:3], s5, v120, v[4:5]
	ds_read2_b64 v[4:7], v103 offset0:64 offset1:208
	v_mov_b32_e32 v1, v12
	v_lshl_add_u64 v[24:25], v[14:15], 3, v[8:9]
	v_lshl_add_u64 v[0:1], v[0:1], 3, v[24:25]
	global_store_dwordx2 v[0:1], v[10:11], off
	v_accvgpr_read_b32 v10, a24
	v_accvgpr_read_b32 v11, a25
	s_waitcnt lgkmcnt(0)
	v_mul_f32_e32 v8, v11, v5
	v_fmac_f32_e32 v8, v10, v4
	v_cvt_f64_f32_e32 v[8:9], v8
	v_mul_f32_e32 v4, v11, v4
	v_mul_f64 v[8:9], v[8:9], s[0:1]
	v_fma_f32 v4, v10, v5, -v4
	v_cvt_f32_f64_e32 v12, v[8:9]
	v_cvt_f64_f32_e32 v[4:5], v4
	ds_read2_b64 v[8:11], v99 offset1:144
	v_mad_u64_u32 v[0:1], s[2:3], s4, v160, v[0:1]
	v_mul_f64 v[4:5], v[4:5], s[0:1]
	s_mul_i32 s2, s5, 0x1200
	v_cvt_f32_f64_e32 v13, v[4:5]
	v_add_u32_e32 v1, s2, v1
	global_store_dwordx2 v[0:1], v[12:13], off
	v_accvgpr_read_b32 v12, a26
	v_accvgpr_read_b32 v13, a27
	s_waitcnt lgkmcnt(0)
	v_mul_f32_e32 v4, v13, v9
	v_fmac_f32_e32 v4, v12, v8
	v_cvt_f64_f32_e32 v[4:5], v4
	v_mul_f64 v[4:5], v[4:5], s[0:1]
	v_cvt_f32_f64_e32 v4, v[4:5]
	v_mul_f32_e32 v5, v13, v8
	v_fma_f32 v5, v12, v9, -v5
	ds_read2_b64 v[12:15], v83 offset0:64 offset1:208
	v_cvt_f64_f32_e32 v[8:9], v5
	v_mul_f64 v[8:9], v[8:9], s[0:1]
	v_cvt_f32_f64_e32 v5, v[8:9]
	v_mad_u64_u32 v[0:1], s[6:7], s4, v160, v[0:1]
	v_accvgpr_read_b32 v8, a18
	v_add_u32_e32 v1, s2, v1
	v_accvgpr_read_b32 v9, a19
	global_store_dwordx2 v[0:1], v[4:5], off
	s_waitcnt lgkmcnt(0)
	v_mul_f32_e32 v4, v9, v13
	v_fmac_f32_e32 v4, v8, v12
	v_cvt_f64_f32_e32 v[4:5], v4
	v_mul_f64 v[4:5], v[4:5], s[0:1]
	v_cvt_f32_f64_e32 v4, v[4:5]
	v_mul_f32_e32 v5, v9, v12
	v_fma_f32 v5, v8, v13, -v5
	ds_read2_b64 v[16:19], v91 offset1:144
	v_cvt_f64_f32_e32 v[8:9], v5
	v_mul_f64 v[8:9], v[8:9], s[0:1]
	v_cvt_f32_f64_e32 v5, v[8:9]
	v_mad_u64_u32 v[0:1], s[6:7], s4, v160, v[0:1]
	v_accvgpr_read_b32 v8, a20
	v_add_u32_e32 v1, s2, v1
	v_accvgpr_read_b32 v9, a21
	global_store_dwordx2 v[0:1], v[4:5], off
	s_waitcnt lgkmcnt(0)
	v_mul_f32_e32 v4, v9, v17
	v_fmac_f32_e32 v4, v8, v16
	v_cvt_f64_f32_e32 v[4:5], v4
	v_mul_f64 v[4:5], v[4:5], s[0:1]
	v_cvt_f32_f64_e32 v4, v[4:5]
	v_mul_f32_e32 v5, v9, v16
	v_fma_f32 v5, v8, v17, -v5
	v_cvt_f64_f32_e32 v[8:9], v5
	v_mul_f64 v[8:9], v[8:9], s[0:1]
	v_accvgpr_read_b32 v13, a1
	v_cvt_f32_f64_e32 v5, v[8:9]
	v_mad_u64_u32 v[8:9], s[6:7], s4, v13, 0
	v_mov_b32_e32 v12, v9
	ds_read2_b64 v[20:23], v220 offset0:64 offset1:208
	v_mad_u64_u32 v[12:13], s[6:7], s5, v13, v[12:13]
	v_mov_b32_e32 v9, v12
	v_lshl_add_u64 v[8:9], v[8:9], 3, v[24:25]
	global_store_dwordx2 v[8:9], v[4:5], off
	v_accvgpr_read_b32 v8, a16
	v_accvgpr_read_b32 v9, a17
	s_waitcnt lgkmcnt(0)
	v_mul_f32_e32 v4, v9, v21
	v_fmac_f32_e32 v4, v8, v20
	v_cvt_f64_f32_e32 v[4:5], v4
	v_mul_f64 v[4:5], v[4:5], s[0:1]
	v_cvt_f32_f64_e32 v4, v[4:5]
	v_mul_f32_e32 v5, v9, v20
	v_fma_f32 v5, v8, v21, -v5
	v_cvt_f64_f32_e32 v[8:9], v5
	v_mul_f64 v[8:9], v[8:9], s[0:1]
	v_cvt_f32_f64_e32 v5, v[8:9]
	v_mov_b32_e32 v8, 0x2400
	v_mad_u64_u32 v[0:1], s[6:7], s4, v8, v[0:1]
	s_mul_i32 s3, s5, 0x2400
	v_accvgpr_read_b32 v8, a28
	v_add_u32_e32 v1, s3, v1
	v_accvgpr_read_b32 v9, a29
	global_store_dwordx2 v[0:1], v[4:5], off
	v_mul_f32_e32 v4, v9, v3
	v_fmac_f32_e32 v4, v8, v2
	v_mul_f32_e32 v2, v9, v2
	v_fma_f32 v2, v8, v3, -v2
	v_cvt_f64_f32_e32 v[4:5], v4
	v_cvt_f64_f32_e32 v[2:3], v2
	v_mul_f64 v[4:5], v[4:5], s[0:1]
	v_mul_f64 v[2:3], v[2:3], s[0:1]
	v_cvt_f32_f64_e32 v4, v[4:5]
	v_cvt_f32_f64_e32 v5, v[2:3]
	v_mul_f32_e32 v2, v177, v7
	v_fmac_f32_e32 v2, v176, v6
	v_cvt_f64_f32_e32 v[2:3], v2
	v_mov_b32_e32 v12, 0xffffaa80
	s_mul_i32 s3, s5, 0xffffaa80
	v_mul_f64 v[2:3], v[2:3], s[0:1]
	v_mad_u64_u32 v[0:1], s[6:7], s4, v12, v[0:1]
	s_sub_i32 s3, s3, s4
	v_cvt_f32_f64_e32 v2, v[2:3]
	v_mul_f32_e32 v3, v177, v6
	v_add_u32_e32 v1, s3, v1
	v_fma_f32 v3, v176, v7, -v3
	global_store_dwordx2 v[0:1], v[4:5], off
	v_cvt_f64_f32_e32 v[4:5], v3
	v_mul_f64 v[4:5], v[4:5], s[0:1]
	v_mad_u64_u32 v[0:1], s[6:7], s4, v160, v[0:1]
	v_cvt_f32_f64_e32 v3, v[4:5]
	v_add_u32_e32 v1, s2, v1
	global_store_dwordx2 v[0:1], v[2:3], off
	v_mul_f32_e32 v2, v179, v11
	v_fmac_f32_e32 v2, v178, v10
	v_cvt_f64_f32_e32 v[2:3], v2
	v_mul_f64 v[2:3], v[2:3], s[0:1]
	v_cvt_f32_f64_e32 v2, v[2:3]
	v_mul_f32_e32 v3, v179, v10
	v_fma_f32 v3, v178, v11, -v3
	v_cvt_f64_f32_e32 v[4:5], v3
	v_mul_f64 v[4:5], v[4:5], s[0:1]
	v_mad_u64_u32 v[0:1], s[6:7], s4, v160, v[0:1]
	v_cvt_f32_f64_e32 v3, v[4:5]
	v_add_u32_e32 v1, s2, v1
	global_store_dwordx2 v[0:1], v[2:3], off
	v_mul_f32_e32 v2, v163, v15
	v_fmac_f32_e32 v2, v162, v14
	v_cvt_f64_f32_e32 v[2:3], v2
	v_mul_f64 v[2:3], v[2:3], s[0:1]
	v_cvt_f32_f64_e32 v2, v[2:3]
	v_mul_f32_e32 v3, v163, v14
	v_fma_f32 v3, v162, v15, -v3
	;; [unrolled: 13-line block ×3, first 2 shown]
	v_cvt_f64_f32_e32 v[4:5], v3
	v_mul_f64 v[4:5], v[4:5], s[0:1]
	v_cvt_f32_f64_e32 v3, v[4:5]
	v_mad_u64_u32 v[4:5], s[6:7], s4, v160, v[0:1]
	v_mul_f32_e32 v0, v165, v23
	v_fmac_f32_e32 v0, v164, v22
	v_cvt_f64_f32_e32 v[0:1], v0
	v_mul_f64 v[0:1], v[0:1], s[0:1]
	v_cvt_f32_f64_e32 v6, v[0:1]
	v_mul_f32_e32 v0, v165, v22
	v_fma_f32 v0, v164, v23, -v0
	v_cvt_f64_f32_e32 v[0:1], v0
	v_add_u32_e32 v5, s2, v5
	v_mul_f64 v[0:1], v[0:1], s[0:1]
	global_store_dwordx2 v[4:5], v[2:3], off
	v_cvt_f32_f64_e32 v7, v[0:1]
	ds_read2_b64 v[0:3], v161 offset0:32 offset1:176
	v_mad_u64_u32 v[8:9], s[6:7], s4, v160, v[4:5]
	v_add_u32_e32 v9, s2, v9
	global_store_dwordx2 v[8:9], v[6:7], off
	v_accvgpr_read_b32 v6, a14
	v_accvgpr_read_b32 v7, a15
	s_waitcnt lgkmcnt(0)
	v_mul_f32_e32 v4, v7, v1
	v_fmac_f32_e32 v4, v6, v0
	v_cvt_f64_f32_e32 v[4:5], v4
	v_mul_f64 v[4:5], v[4:5], s[0:1]
	v_mul_f32_e32 v0, v7, v0
	v_cvt_f32_f64_e32 v10, v[4:5]
	v_fma_f32 v0, v6, v1, -v0
	ds_read2_b64 v[4:7], v71 offset0:96 offset1:240
	v_cvt_f64_f32_e32 v[0:1], v0
	v_mul_f64 v[0:1], v[0:1], s[0:1]
	v_cvt_f32_f64_e32 v11, v[0:1]
	v_mad_u64_u32 v[0:1], s[6:7], s4, v12, v[8:9]
	s_waitcnt lgkmcnt(0)
	v_mul_f32_e32 v8, v213, v5
	v_fmac_f32_e32 v8, v212, v4
	v_cvt_f64_f32_e32 v[8:9], v8
	v_add_u32_e32 v1, s3, v1
	v_mul_f64 v[8:9], v[8:9], s[0:1]
	global_store_dwordx2 v[0:1], v[10:11], off
	v_cvt_f32_f64_e32 v12, v[8:9]
	ds_read2_b64 v[8:11], v246 offset0:32 offset1:176
	v_mul_f32_e32 v4, v213, v4
	v_fma_f32 v4, v212, v5, -v4
	v_cvt_f64_f32_e32 v[4:5], v4
	v_mul_f64 v[4:5], v[4:5], s[0:1]
	v_cvt_f32_f64_e32 v13, v[4:5]
	s_waitcnt lgkmcnt(0)
	v_mul_f32_e32 v4, v215, v9
	v_fmac_f32_e32 v4, v214, v8
	v_mad_u64_u32 v[0:1], s[6:7], s4, v160, v[0:1]
	v_cvt_f64_f32_e32 v[4:5], v4
	v_add_u32_e32 v1, s2, v1
	v_mul_f64 v[4:5], v[4:5], s[0:1]
	global_store_dwordx2 v[0:1], v[12:13], off
	v_cvt_f32_f64_e32 v4, v[4:5]
	v_mul_f32_e32 v5, v215, v8
	ds_read2_b64 v[12:15], v79 offset0:96 offset1:240
	v_fma_f32 v5, v214, v9, -v5
	v_cvt_f64_f32_e32 v[8:9], v5
	v_mul_f64 v[8:9], v[8:9], s[0:1]
	v_mad_u64_u32 v[0:1], s[6:7], s4, v160, v[0:1]
	v_cvt_f32_f64_e32 v5, v[8:9]
	v_add_u32_e32 v1, s2, v1
	global_store_dwordx2 v[0:1], v[4:5], off
	s_waitcnt lgkmcnt(0)
	v_mul_f32_e32 v4, v203, v13
	v_fmac_f32_e32 v4, v202, v12
	v_cvt_f64_f32_e32 v[4:5], v4
	v_mul_f64 v[4:5], v[4:5], s[0:1]
	v_cvt_f32_f64_e32 v4, v[4:5]
	v_mul_f32_e32 v5, v203, v12
	ds_read2_b64 v[16:19], v66 offset0:32 offset1:176
	v_fma_f32 v5, v202, v13, -v5
	v_cvt_f64_f32_e32 v[8:9], v5
	v_mul_f64 v[8:9], v[8:9], s[0:1]
	v_mad_u64_u32 v[0:1], s[6:7], s4, v160, v[0:1]
	v_cvt_f32_f64_e32 v5, v[8:9]
	v_add_u32_e32 v1, s2, v1
	global_store_dwordx2 v[0:1], v[4:5], off
	s_waitcnt lgkmcnt(0)
	v_mul_f32_e32 v4, v225, v17
	v_fmac_f32_e32 v4, v224, v16
	v_cvt_f64_f32_e32 v[4:5], v4
	v_mul_f64 v[4:5], v[4:5], s[0:1]
	;; [unrolled: 15-line block ×3, first 2 shown]
	v_cvt_f32_f64_e32 v4, v[4:5]
	v_mul_f32_e32 v5, v205, v20
	v_fma_f32 v5, v204, v21, -v5
	v_cvt_f64_f32_e32 v[8:9], v5
	v_mul_f64 v[8:9], v[8:9], s[0:1]
	v_cvt_f32_f64_e32 v5, v[8:9]
	v_mad_u64_u32 v[0:1], s[6:7], s4, v160, v[0:1]
	v_accvgpr_read_b32 v8, a12
	v_add_u32_e32 v1, s2, v1
	v_accvgpr_read_b32 v9, a13
	global_store_dwordx2 v[0:1], v[4:5], off
	v_mul_f32_e32 v4, v9, v3
	v_fmac_f32_e32 v4, v8, v2
	v_mul_f32_e32 v2, v9, v2
	v_fma_f32 v2, v8, v3, -v2
	v_mov_b32_e32 v24, 0xffffaa80
	v_cvt_f64_f32_e32 v[4:5], v4
	v_cvt_f64_f32_e32 v[2:3], v2
	v_mul_f64 v[4:5], v[4:5], s[0:1]
	v_mul_f64 v[2:3], v[2:3], s[0:1]
	v_mad_u64_u32 v[0:1], s[6:7], s4, v24, v[0:1]
	v_cvt_f32_f64_e32 v4, v[4:5]
	v_cvt_f32_f64_e32 v5, v[2:3]
	v_add_u32_e32 v1, s3, v1
	global_store_dwordx2 v[0:1], v[4:5], off
	v_accvgpr_read_b32 v4, a10
	v_accvgpr_read_b32 v5, a11
	v_mul_f32_e32 v2, v5, v7
	v_fmac_f32_e32 v2, v4, v6
	v_cvt_f64_f32_e32 v[2:3], v2
	v_mul_f64 v[2:3], v[2:3], s[0:1]
	v_cvt_f32_f64_e32 v2, v[2:3]
	v_mul_f32_e32 v3, v5, v6
	v_fma_f32 v3, v4, v7, -v3
	v_cvt_f64_f32_e32 v[4:5], v3
	v_mul_f64 v[4:5], v[4:5], s[0:1]
	v_cvt_f32_f64_e32 v3, v[4:5]
	v_mad_u64_u32 v[0:1], s[6:7], s4, v160, v[0:1]
	v_accvgpr_read_b32 v4, a8
	v_add_u32_e32 v1, s2, v1
	v_accvgpr_read_b32 v5, a9
	global_store_dwordx2 v[0:1], v[2:3], off
	v_mul_f32_e32 v2, v5, v11
	v_fmac_f32_e32 v2, v4, v10
	v_cvt_f64_f32_e32 v[2:3], v2
	v_mul_f64 v[2:3], v[2:3], s[0:1]
	v_cvt_f32_f64_e32 v2, v[2:3]
	v_mul_f32_e32 v3, v5, v10
	v_fma_f32 v3, v4, v11, -v3
	v_cvt_f64_f32_e32 v[4:5], v3
	v_mul_f64 v[4:5], v[4:5], s[0:1]
	v_mad_u64_u32 v[0:1], s[6:7], s4, v160, v[0:1]
	v_cvt_f32_f64_e32 v3, v[4:5]
	v_add_u32_e32 v1, s2, v1
	global_store_dwordx2 v[0:1], v[2:3], off
	v_mul_f32_e32 v2, v219, v15
	v_fmac_f32_e32 v2, v218, v14
	v_cvt_f64_f32_e32 v[2:3], v2
	v_mul_f64 v[2:3], v[2:3], s[0:1]
	v_cvt_f32_f64_e32 v2, v[2:3]
	v_mul_f32_e32 v3, v219, v14
	v_fma_f32 v3, v218, v15, -v3
	v_cvt_f64_f32_e32 v[4:5], v3
	v_mul_f64 v[4:5], v[4:5], s[0:1]
	v_cvt_f32_f64_e32 v3, v[4:5]
	v_mad_u64_u32 v[0:1], s[6:7], s4, v160, v[0:1]
	v_accvgpr_read_b32 v4, a6
	v_add_u32_e32 v1, s2, v1
	v_accvgpr_read_b32 v5, a7
	global_store_dwordx2 v[0:1], v[2:3], off
	v_mul_f32_e32 v2, v5, v19
	v_fmac_f32_e32 v2, v4, v18
	v_cvt_f64_f32_e32 v[2:3], v2
	v_mul_f64 v[2:3], v[2:3], s[0:1]
	v_cvt_f32_f64_e32 v2, v[2:3]
	v_mul_f32_e32 v3, v5, v18
	v_fma_f32 v3, v4, v19, -v3
	v_cvt_f64_f32_e32 v[4:5], v3
	v_mul_f64 v[4:5], v[4:5], s[0:1]
	v_cvt_f32_f64_e32 v3, v[4:5]
	v_mad_u64_u32 v[0:1], s[6:7], s4, v160, v[0:1]
	v_accvgpr_read_b32 v4, a4
	v_add_u32_e32 v1, s2, v1
	v_accvgpr_read_b32 v5, a5
	global_store_dwordx2 v[0:1], v[2:3], off
	v_mul_f32_e32 v2, v5, v23
	v_fmac_f32_e32 v2, v4, v22
	v_cvt_f64_f32_e32 v[2:3], v2
	v_mul_f64 v[2:3], v[2:3], s[0:1]
	v_cvt_f32_f64_e32 v2, v[2:3]
	v_mul_f32_e32 v3, v5, v22
	v_fma_f32 v3, v4, v23, -v3
	v_cvt_f64_f32_e32 v[4:5], v3
	v_mul_f64 v[4:5], v[4:5], s[0:1]
	v_mad_u64_u32 v[0:1], s[0:1], s4, v160, v[0:1]
	v_cvt_f32_f64_e32 v3, v[4:5]
	v_add_u32_e32 v1, s2, v1
	global_store_dwordx2 v[0:1], v[2:3], off
.LBB0_2:
	s_endpgm
	.section	.rodata,"a",@progbits
	.p2align	6, 0x0
	.amdhsa_kernel bluestein_single_back_len3456_dim1_sp_op_CI_CI
		.amdhsa_group_segment_fixed_size 27648
		.amdhsa_private_segment_fixed_size 0
		.amdhsa_kernarg_size 104
		.amdhsa_user_sgpr_count 2
		.amdhsa_user_sgpr_dispatch_ptr 0
		.amdhsa_user_sgpr_queue_ptr 0
		.amdhsa_user_sgpr_kernarg_segment_ptr 1
		.amdhsa_user_sgpr_dispatch_id 0
		.amdhsa_user_sgpr_kernarg_preload_length 0
		.amdhsa_user_sgpr_kernarg_preload_offset 0
		.amdhsa_user_sgpr_private_segment_size 0
		.amdhsa_uses_dynamic_stack 0
		.amdhsa_enable_private_segment 0
		.amdhsa_system_sgpr_workgroup_id_x 1
		.amdhsa_system_sgpr_workgroup_id_y 0
		.amdhsa_system_sgpr_workgroup_id_z 0
		.amdhsa_system_sgpr_workgroup_info 0
		.amdhsa_system_vgpr_workitem_id 0
		.amdhsa_next_free_vgpr 345
		.amdhsa_next_free_sgpr 24
		.amdhsa_accum_offset 256
		.amdhsa_reserve_vcc 1
		.amdhsa_float_round_mode_32 0
		.amdhsa_float_round_mode_16_64 0
		.amdhsa_float_denorm_mode_32 3
		.amdhsa_float_denorm_mode_16_64 3
		.amdhsa_dx10_clamp 1
		.amdhsa_ieee_mode 1
		.amdhsa_fp16_overflow 0
		.amdhsa_tg_split 0
		.amdhsa_exception_fp_ieee_invalid_op 0
		.amdhsa_exception_fp_denorm_src 0
		.amdhsa_exception_fp_ieee_div_zero 0
		.amdhsa_exception_fp_ieee_overflow 0
		.amdhsa_exception_fp_ieee_underflow 0
		.amdhsa_exception_fp_ieee_inexact 0
		.amdhsa_exception_int_div_zero 0
	.end_amdhsa_kernel
	.text
.Lfunc_end0:
	.size	bluestein_single_back_len3456_dim1_sp_op_CI_CI, .Lfunc_end0-bluestein_single_back_len3456_dim1_sp_op_CI_CI
                                        ; -- End function
	.section	.AMDGPU.csdata,"",@progbits
; Kernel info:
; codeLenInByte = 22100
; NumSgprs: 30
; NumVgprs: 256
; NumAgprs: 89
; TotalNumVgprs: 345
; ScratchSize: 0
; MemoryBound: 0
; FloatMode: 240
; IeeeMode: 1
; LDSByteSize: 27648 bytes/workgroup (compile time only)
; SGPRBlocks: 3
; VGPRBlocks: 43
; NumSGPRsForWavesPerEU: 30
; NumVGPRsForWavesPerEU: 345
; AccumOffset: 256
; Occupancy: 1
; WaveLimiterHint : 1
; COMPUTE_PGM_RSRC2:SCRATCH_EN: 0
; COMPUTE_PGM_RSRC2:USER_SGPR: 2
; COMPUTE_PGM_RSRC2:TRAP_HANDLER: 0
; COMPUTE_PGM_RSRC2:TGID_X_EN: 1
; COMPUTE_PGM_RSRC2:TGID_Y_EN: 0
; COMPUTE_PGM_RSRC2:TGID_Z_EN: 0
; COMPUTE_PGM_RSRC2:TIDIG_COMP_CNT: 0
; COMPUTE_PGM_RSRC3_GFX90A:ACCUM_OFFSET: 63
; COMPUTE_PGM_RSRC3_GFX90A:TG_SPLIT: 0
	.text
	.p2alignl 6, 3212836864
	.fill 256, 4, 3212836864
	.type	__hip_cuid_fe0ec75be3cf1e4e,@object ; @__hip_cuid_fe0ec75be3cf1e4e
	.section	.bss,"aw",@nobits
	.globl	__hip_cuid_fe0ec75be3cf1e4e
__hip_cuid_fe0ec75be3cf1e4e:
	.byte	0                               ; 0x0
	.size	__hip_cuid_fe0ec75be3cf1e4e, 1

	.ident	"AMD clang version 19.0.0git (https://github.com/RadeonOpenCompute/llvm-project roc-6.4.0 25133 c7fe45cf4b819c5991fe208aaa96edf142730f1d)"
	.section	".note.GNU-stack","",@progbits
	.addrsig
	.addrsig_sym __hip_cuid_fe0ec75be3cf1e4e
	.amdgpu_metadata
---
amdhsa.kernels:
  - .agpr_count:     89
    .args:
      - .actual_access:  read_only
        .address_space:  global
        .offset:         0
        .size:           8
        .value_kind:     global_buffer
      - .actual_access:  read_only
        .address_space:  global
        .offset:         8
        .size:           8
        .value_kind:     global_buffer
      - .actual_access:  read_only
        .address_space:  global
        .offset:         16
        .size:           8
        .value_kind:     global_buffer
      - .actual_access:  read_only
        .address_space:  global
        .offset:         24
        .size:           8
        .value_kind:     global_buffer
      - .actual_access:  read_only
        .address_space:  global
        .offset:         32
        .size:           8
        .value_kind:     global_buffer
      - .offset:         40
        .size:           8
        .value_kind:     by_value
      - .address_space:  global
        .offset:         48
        .size:           8
        .value_kind:     global_buffer
      - .address_space:  global
        .offset:         56
        .size:           8
        .value_kind:     global_buffer
      - .address_space:  global
        .offset:         64
        .size:           8
        .value_kind:     global_buffer
      - .address_space:  global
        .offset:         72
        .size:           8
        .value_kind:     global_buffer
      - .offset:         80
        .size:           4
        .value_kind:     by_value
      - .address_space:  global
        .offset:         88
        .size:           8
        .value_kind:     global_buffer
      - .address_space:  global
        .offset:         96
        .size:           8
        .value_kind:     global_buffer
    .group_segment_fixed_size: 27648
    .kernarg_segment_align: 8
    .kernarg_segment_size: 104
    .language:       OpenCL C
    .language_version:
      - 2
      - 0
    .max_flat_workgroup_size: 144
    .name:           bluestein_single_back_len3456_dim1_sp_op_CI_CI
    .private_segment_fixed_size: 0
    .sgpr_count:     30
    .sgpr_spill_count: 0
    .symbol:         bluestein_single_back_len3456_dim1_sp_op_CI_CI.kd
    .uniform_work_group_size: 1
    .uses_dynamic_stack: false
    .vgpr_count:     345
    .vgpr_spill_count: 0
    .wavefront_size: 64
amdhsa.target:   amdgcn-amd-amdhsa--gfx950
amdhsa.version:
  - 1
  - 2
...

	.end_amdgpu_metadata
